;; amdgpu-corpus repo=ROCm/rocFFT kind=compiled arch=gfx1030 opt=O3
	.text
	.amdgcn_target "amdgcn-amd-amdhsa--gfx1030"
	.amdhsa_code_object_version 6
	.protected	fft_rtc_back_len3840_factors_10_6_2_2_2_2_2_2_wgs_128_tpt_128_halfLds_dp_op_CI_CI_unitstride_sbrr_C2R_dirReg ; -- Begin function fft_rtc_back_len3840_factors_10_6_2_2_2_2_2_2_wgs_128_tpt_128_halfLds_dp_op_CI_CI_unitstride_sbrr_C2R_dirReg
	.globl	fft_rtc_back_len3840_factors_10_6_2_2_2_2_2_2_wgs_128_tpt_128_halfLds_dp_op_CI_CI_unitstride_sbrr_C2R_dirReg
	.p2align	8
	.type	fft_rtc_back_len3840_factors_10_6_2_2_2_2_2_2_wgs_128_tpt_128_halfLds_dp_op_CI_CI_unitstride_sbrr_C2R_dirReg,@function
fft_rtc_back_len3840_factors_10_6_2_2_2_2_2_2_wgs_128_tpt_128_halfLds_dp_op_CI_CI_unitstride_sbrr_C2R_dirReg: ; @fft_rtc_back_len3840_factors_10_6_2_2_2_2_2_2_wgs_128_tpt_128_halfLds_dp_op_CI_CI_unitstride_sbrr_C2R_dirReg
; %bb.0:
	s_clause 0x2
	s_load_dwordx4 s[12:15], s[4:5], 0x0
	s_load_dwordx4 s[8:11], s[4:5], 0x58
	;; [unrolled: 1-line block ×3, first 2 shown]
	v_mov_b32_e32 v3, 0
	s_mov_b64 s[30:31], s[2:3]
	s_mov_b64 s[28:29], s[0:1]
	v_mov_b32_e32 v1, 0
	v_mov_b32_e32 v5, s6
	v_mov_b32_e32 v6, v3
	v_mov_b32_e32 v2, 0
	s_add_u32 s28, s28, s7
	s_addc_u32 s29, s29, 0
	s_waitcnt lgkmcnt(0)
	v_cmp_lt_u64_e64 s0, s[14:15], 2
	s_and_b32 vcc_lo, exec_lo, s0
	s_cbranch_vccnz .LBB0_8
; %bb.1:
	s_load_dwordx2 s[0:1], s[4:5], 0x10
	v_mov_b32_e32 v1, 0
	v_mov_b32_e32 v2, 0
	s_add_u32 s2, s18, 8
	s_addc_u32 s3, s19, 0
	s_add_u32 s6, s16, 8
	s_addc_u32 s7, s17, 0
	v_mov_b32_e32 v122, v2
	v_mov_b32_e32 v121, v1
	s_mov_b64 s[22:23], 1
	s_waitcnt lgkmcnt(0)
	s_add_u32 s20, s0, 8
	s_addc_u32 s21, s1, 0
.LBB0_2:                                ; =>This Inner Loop Header: Depth=1
	s_load_dwordx2 s[24:25], s[20:21], 0x0
                                        ; implicit-def: $vgpr123_vgpr124
	s_mov_b32 s0, exec_lo
	s_waitcnt lgkmcnt(0)
	v_or_b32_e32 v4, s25, v6
	v_cmpx_ne_u64_e32 0, v[3:4]
	s_xor_b32 s1, exec_lo, s0
	s_cbranch_execz .LBB0_4
; %bb.3:                                ;   in Loop: Header=BB0_2 Depth=1
	v_cvt_f32_u32_e32 v4, s24
	v_cvt_f32_u32_e32 v7, s25
	s_sub_u32 s0, 0, s24
	s_subb_u32 s26, 0, s25
	v_fmac_f32_e32 v4, 0x4f800000, v7
	v_rcp_f32_e32 v4, v4
	v_mul_f32_e32 v4, 0x5f7ffffc, v4
	v_mul_f32_e32 v7, 0x2f800000, v4
	v_trunc_f32_e32 v7, v7
	v_fmac_f32_e32 v4, 0xcf800000, v7
	v_cvt_u32_f32_e32 v7, v7
	v_cvt_u32_f32_e32 v4, v4
	v_mul_lo_u32 v8, s0, v7
	v_mul_hi_u32 v9, s0, v4
	v_mul_lo_u32 v10, s26, v4
	v_add_nc_u32_e32 v8, v9, v8
	v_mul_lo_u32 v9, s0, v4
	v_add_nc_u32_e32 v8, v8, v10
	v_mul_hi_u32 v10, v4, v9
	v_mul_lo_u32 v11, v4, v8
	v_mul_hi_u32 v12, v4, v8
	v_mul_hi_u32 v13, v7, v9
	v_mul_lo_u32 v9, v7, v9
	v_mul_hi_u32 v14, v7, v8
	v_mul_lo_u32 v8, v7, v8
	v_add_co_u32 v10, vcc_lo, v10, v11
	v_add_co_ci_u32_e32 v11, vcc_lo, 0, v12, vcc_lo
	v_add_co_u32 v9, vcc_lo, v10, v9
	v_add_co_ci_u32_e32 v9, vcc_lo, v11, v13, vcc_lo
	v_add_co_ci_u32_e32 v10, vcc_lo, 0, v14, vcc_lo
	v_add_co_u32 v8, vcc_lo, v9, v8
	v_add_co_ci_u32_e32 v9, vcc_lo, 0, v10, vcc_lo
	v_add_co_u32 v4, vcc_lo, v4, v8
	v_add_co_ci_u32_e32 v7, vcc_lo, v7, v9, vcc_lo
	v_mul_hi_u32 v8, s0, v4
	v_mul_lo_u32 v10, s26, v4
	v_mul_lo_u32 v9, s0, v7
	v_add_nc_u32_e32 v8, v8, v9
	v_mul_lo_u32 v9, s0, v4
	v_add_nc_u32_e32 v8, v8, v10
	v_mul_hi_u32 v10, v4, v9
	v_mul_lo_u32 v11, v4, v8
	v_mul_hi_u32 v12, v4, v8
	v_mul_hi_u32 v13, v7, v9
	v_mul_lo_u32 v9, v7, v9
	v_mul_hi_u32 v14, v7, v8
	v_mul_lo_u32 v8, v7, v8
	v_add_co_u32 v10, vcc_lo, v10, v11
	v_add_co_ci_u32_e32 v11, vcc_lo, 0, v12, vcc_lo
	v_add_co_u32 v9, vcc_lo, v10, v9
	v_add_co_ci_u32_e32 v9, vcc_lo, v11, v13, vcc_lo
	v_add_co_ci_u32_e32 v10, vcc_lo, 0, v14, vcc_lo
	v_add_co_u32 v8, vcc_lo, v9, v8
	v_add_co_ci_u32_e32 v9, vcc_lo, 0, v10, vcc_lo
	v_add_co_u32 v4, vcc_lo, v4, v8
	v_add_co_ci_u32_e32 v11, vcc_lo, v7, v9, vcc_lo
	v_mul_hi_u32 v13, v5, v4
	v_mad_u64_u32 v[9:10], null, v6, v4, 0
	v_mad_u64_u32 v[7:8], null, v5, v11, 0
	;; [unrolled: 1-line block ×3, first 2 shown]
	v_add_co_u32 v4, vcc_lo, v13, v7
	v_add_co_ci_u32_e32 v7, vcc_lo, 0, v8, vcc_lo
	v_add_co_u32 v4, vcc_lo, v4, v9
	v_add_co_ci_u32_e32 v4, vcc_lo, v7, v10, vcc_lo
	v_add_co_ci_u32_e32 v7, vcc_lo, 0, v12, vcc_lo
	v_add_co_u32 v4, vcc_lo, v4, v11
	v_add_co_ci_u32_e32 v9, vcc_lo, 0, v7, vcc_lo
	v_mul_lo_u32 v10, s25, v4
	v_mad_u64_u32 v[7:8], null, s24, v4, 0
	v_mul_lo_u32 v11, s24, v9
	v_sub_co_u32 v7, vcc_lo, v5, v7
	v_add3_u32 v8, v8, v11, v10
	v_sub_nc_u32_e32 v10, v6, v8
	v_subrev_co_ci_u32_e64 v10, s0, s25, v10, vcc_lo
	v_add_co_u32 v11, s0, v4, 2
	v_add_co_ci_u32_e64 v12, s0, 0, v9, s0
	v_sub_co_u32 v13, s0, v7, s24
	v_sub_co_ci_u32_e32 v8, vcc_lo, v6, v8, vcc_lo
	v_subrev_co_ci_u32_e64 v10, s0, 0, v10, s0
	v_cmp_le_u32_e32 vcc_lo, s24, v13
	v_cmp_eq_u32_e64 s0, s25, v8
	v_cndmask_b32_e64 v13, 0, -1, vcc_lo
	v_cmp_le_u32_e32 vcc_lo, s25, v10
	v_cndmask_b32_e64 v14, 0, -1, vcc_lo
	v_cmp_le_u32_e32 vcc_lo, s24, v7
	v_cndmask_b32_e64 v7, 0, -1, vcc_lo
	v_cmp_le_u32_e32 vcc_lo, s25, v8
	v_cndmask_b32_e64 v15, 0, -1, vcc_lo
	v_cmp_eq_u32_e32 vcc_lo, s25, v10
	v_cndmask_b32_e64 v7, v15, v7, s0
	v_cndmask_b32_e32 v10, v14, v13, vcc_lo
	v_add_co_u32 v13, vcc_lo, v4, 1
	v_add_co_ci_u32_e32 v14, vcc_lo, 0, v9, vcc_lo
	v_cmp_ne_u32_e32 vcc_lo, 0, v10
	v_cndmask_b32_e32 v8, v14, v12, vcc_lo
	v_cndmask_b32_e32 v10, v13, v11, vcc_lo
	v_cmp_ne_u32_e32 vcc_lo, 0, v7
	v_cndmask_b32_e32 v124, v9, v8, vcc_lo
	v_cndmask_b32_e32 v123, v4, v10, vcc_lo
.LBB0_4:                                ;   in Loop: Header=BB0_2 Depth=1
	s_andn2_saveexec_b32 s0, s1
	s_cbranch_execz .LBB0_6
; %bb.5:                                ;   in Loop: Header=BB0_2 Depth=1
	v_cvt_f32_u32_e32 v4, s24
	s_sub_i32 s1, 0, s24
	v_mov_b32_e32 v124, v3
	v_rcp_iflag_f32_e32 v4, v4
	v_mul_f32_e32 v4, 0x4f7ffffe, v4
	v_cvt_u32_f32_e32 v4, v4
	v_mul_lo_u32 v7, s1, v4
	v_mul_hi_u32 v7, v4, v7
	v_add_nc_u32_e32 v4, v4, v7
	v_mul_hi_u32 v4, v5, v4
	v_mul_lo_u32 v7, v4, s24
	v_add_nc_u32_e32 v8, 1, v4
	v_sub_nc_u32_e32 v7, v5, v7
	v_subrev_nc_u32_e32 v9, s24, v7
	v_cmp_le_u32_e32 vcc_lo, s24, v7
	v_cndmask_b32_e32 v7, v7, v9, vcc_lo
	v_cndmask_b32_e32 v4, v4, v8, vcc_lo
	v_cmp_le_u32_e32 vcc_lo, s24, v7
	v_add_nc_u32_e32 v8, 1, v4
	v_cndmask_b32_e32 v123, v4, v8, vcc_lo
.LBB0_6:                                ;   in Loop: Header=BB0_2 Depth=1
	s_or_b32 exec_lo, exec_lo, s0
	v_mul_lo_u32 v4, v124, s24
	v_mul_lo_u32 v9, v123, s25
	s_load_dwordx2 s[0:1], s[6:7], 0x0
	v_mad_u64_u32 v[7:8], null, v123, s24, 0
	s_load_dwordx2 s[24:25], s[2:3], 0x0
	s_add_u32 s22, s22, 1
	s_addc_u32 s23, s23, 0
	s_add_u32 s2, s2, 8
	s_addc_u32 s3, s3, 0
	s_add_u32 s6, s6, 8
	v_add3_u32 v4, v8, v9, v4
	v_sub_co_u32 v5, vcc_lo, v5, v7
	s_addc_u32 s7, s7, 0
	s_add_u32 s20, s20, 8
	v_sub_co_ci_u32_e32 v4, vcc_lo, v6, v4, vcc_lo
	s_addc_u32 s21, s21, 0
	s_waitcnt lgkmcnt(0)
	v_mul_lo_u32 v6, s0, v4
	v_mul_lo_u32 v7, s1, v5
	v_mad_u64_u32 v[1:2], null, s0, v5, v[1:2]
	v_mul_lo_u32 v4, s24, v4
	v_mul_lo_u32 v8, s25, v5
	v_mad_u64_u32 v[121:122], null, s24, v5, v[121:122]
	v_cmp_ge_u64_e64 s0, s[22:23], s[14:15]
	v_add3_u32 v2, v7, v2, v6
	v_add3_u32 v122, v8, v122, v4
	s_and_b32 vcc_lo, exec_lo, s0
	s_cbranch_vccnz .LBB0_9
; %bb.7:                                ;   in Loop: Header=BB0_2 Depth=1
	v_mov_b32_e32 v5, v123
	v_mov_b32_e32 v6, v124
	s_branch .LBB0_2
.LBB0_8:
	v_mov_b32_e32 v122, v2
	v_mov_b32_e32 v124, v6
	;; [unrolled: 1-line block ×4, first 2 shown]
.LBB0_9:
	s_load_dwordx2 s[0:1], s[4:5], 0x28
	s_lshl_b64 s[4:5], s[14:15], 3
                                        ; implicit-def: $vgpr125
                                        ; implicit-def: $vgpr5_vgpr6
	s_add_u32 s2, s18, s4
	s_addc_u32 s3, s19, s5
	s_waitcnt lgkmcnt(0)
	v_cmp_gt_u64_e32 vcc_lo, s[0:1], v[123:124]
	v_cmp_le_u64_e64 s0, s[0:1], v[123:124]
	s_and_saveexec_b32 s1, s0
	s_xor_b32 s0, exec_lo, s1
; %bb.10:
	v_mov_b32_e32 v1, 0
	v_mov_b32_e32 v125, v0
	v_mov_b32_e32 v6, v1
	v_mov_b32_e32 v5, v0
                                        ; implicit-def: $vgpr1_vgpr2
; %bb.11:
	s_or_saveexec_b32 s1, s0
	s_load_dwordx2 s[2:3], s[2:3], 0x0
	s_xor_b32 exec_lo, exec_lo, s1
	s_cbranch_execz .LBB0_15
; %bb.12:
	s_add_u32 s4, s16, s4
	s_addc_u32 s5, s17, s5
	v_lshlrev_b32_e32 v134, 4, v0
	s_load_dwordx2 s[4:5], s[4:5], 0x0
	v_mov_b32_e32 v125, v0
	v_or_b32_e32 v135, 0x3800, v134
	v_or_b32_e32 v136, 0x7800, v134
	;; [unrolled: 1-line block ×16, first 2 shown]
	s_waitcnt lgkmcnt(0)
	v_mul_lo_u32 v5, s5, v123
	v_mul_lo_u32 v6, s4, v124
	v_mad_u64_u32 v[3:4], null, s4, v123, 0
	v_or_b32_e32 v137, 0xb800, v134
	v_or_b32_e32 v77, 0xc000, v134
	;; [unrolled: 1-line block ×6, first 2 shown]
	v_add3_u32 v4, v4, v6, v5
	v_lshlrev_b64 v[5:6], 4, v[1:2]
	v_or_b32_e32 v86, 0xe800, v134
	v_lshlrev_b64 v[1:2], 4, v[3:4]
	v_add_co_u32 v1, s0, s8, v1
	v_add_co_ci_u32_e64 v3, s0, s9, v2, s0
	v_add_co_u32 v2, s0, v1, v5
	v_add_co_ci_u32_e64 v3, s0, v3, v6, s0
	v_or_b32_e32 v1, 0x3000, v134
	v_add_co_u32 v4, s0, v2, v134
	v_add_co_ci_u32_e64 v5, s0, 0, v3, s0
	v_add_co_u32 v31, s0, v2, v135
	v_add_co_ci_u32_e64 v32, s0, 0, v3, s0
	;; [unrolled: 2-line block ×7, first 2 shown]
	s_clause 0x1
	global_load_dwordx4 v[7:10], v[4:5], off
	global_load_dwordx4 v[11:14], v[11:12], off
	v_add_co_u32 v4, s0, v2, v17
	v_add_co_ci_u32_e64 v5, s0, 0, v3, s0
	v_add_co_u32 v35, s0, v2, v1
	v_or_b32_e32 v1, 0x4000, v134
	v_or_b32_e32 v6, 0x4800, v134
	v_add_co_ci_u32_e64 v36, s0, 0, v3, s0
	s_clause 0x5
	global_load_dwordx4 v[15:18], v[15:16], off
	global_load_dwordx4 v[19:22], v[19:20], off
	global_load_dwordx4 v[23:26], v[23:24], off
	global_load_dwordx4 v[27:30], v[4:5], off
	global_load_dwordx4 v[31:34], v[31:32], off
	global_load_dwordx4 v[35:38], v[35:36], off
	v_add_co_u32 v4, s0, v2, v1
	v_add_co_ci_u32_e64 v5, s0, 0, v3, s0
	v_add_co_u32 v43, s0, v2, v6
	v_add_co_ci_u32_e64 v44, s0, 0, v3, s0
	;; [unrolled: 2-line block ×3, first 2 shown]
	v_add_co_u32 v51, s0, v2, v40
	v_or_b32_e32 v1, 0x6800, v134
	v_add_co_ci_u32_e64 v52, s0, 0, v3, s0
	s_clause 0x1
	global_load_dwordx4 v[39:42], v[4:5], off
	global_load_dwordx4 v[43:46], v[43:44], off
	v_add_co_u32 v4, s0, v2, v49
	v_add_co_ci_u32_e64 v5, s0, 0, v3, s0
	v_add_co_u32 v59, s0, v2, v1
	v_add_co_ci_u32_e64 v60, s0, 0, v3, s0
	v_add_co_u32 v67, s0, v2, v50
	v_or_b32_e32 v1, 0x8800, v134
	v_add_co_ci_u32_e64 v68, s0, 0, v3, s0
	s_clause 0x3
	global_load_dwordx4 v[47:50], v[47:48], off
	global_load_dwordx4 v[51:54], v[51:52], off
	;; [unrolled: 1-line block ×4, first 2 shown]
	v_add_co_u32 v4, s0, v2, v65
	v_or_b32_e32 v6, 0x9000, v134
	v_add_co_ci_u32_e64 v5, s0, 0, v3, s0
	v_add_co_u32 v75, s0, v2, v1
	v_add_co_ci_u32_e64 v76, s0, 0, v3, s0
	v_add_co_u32 v79, s0, v2, v6
	;; [unrolled: 2-line block ×13, first 2 shown]
	v_add_co_ci_u32_e64 v131, s0, 0, v3, s0
	s_clause 0xf
	global_load_dwordx4 v[63:66], v[63:64], off
	global_load_dwordx4 v[67:70], v[67:68], off
	;; [unrolled: 1-line block ×16, first 2 shown]
	v_mov_b32_e32 v1, 0
	v_cmp_eq_u32_e64 s0, 0x7f, v0
	v_add_nc_u32_e32 v4, 0, v134
	v_add_nc_u32_e32 v119, 0, v135
	;; [unrolled: 1-line block ×3, first 2 shown]
	v_mov_b32_e32 v6, v1
	v_mov_b32_e32 v5, v0
	v_add_nc_u32_e32 v134, 0, v137
	s_waitcnt vmcnt(29)
	ds_write_b128 v4, v[7:10]
	s_waitcnt vmcnt(23)
	ds_write_b128 v119, v[31:34]
	;; [unrolled: 2-line block ×3, first 2 shown]
	ds_write_b128 v4, v[11:14] offset:2048
	ds_write_b128 v4, v[15:18] offset:4096
	;; [unrolled: 1-line block ×12, first 2 shown]
	s_waitcnt vmcnt(14)
	ds_write_b128 v4, v[67:70] offset:28672
	s_waitcnt vmcnt(13)
	ds_write_b128 v4, v[71:74] offset:32768
	;; [unrolled: 2-line block ×8, first 2 shown]
	s_waitcnt vmcnt(6)
	ds_write_b128 v134, v[99:102]
	s_waitcnt vmcnt(5)
	ds_write_b128 v4, v[103:106] offset:49152
	s_waitcnt vmcnt(4)
	ds_write_b128 v4, v[107:110] offset:51200
	;; [unrolled: 2-line block ×6, first 2 shown]
	s_and_saveexec_b32 s4, s0
	s_cbranch_execz .LBB0_14
; %bb.13:
	v_add_co_u32 v2, s0, 0xf000, v2
	v_add_co_ci_u32_e64 v3, s0, 0, v3, s0
	v_mov_b32_e32 v5, 0x7f
	v_mov_b32_e32 v6, 0
	;; [unrolled: 1-line block ×3, first 2 shown]
	global_load_dwordx4 v[7:10], v[2:3], off
	s_waitcnt vmcnt(0)
	ds_write_b128 v1, v[7:10] offset:61440
.LBB0_14:
	s_or_b32 exec_lo, exec_lo, s4
.LBB0_15:
	s_or_b32 exec_lo, exec_lo, s1
	v_lshlrev_b32_e32 v1, 4, v125
	s_waitcnt lgkmcnt(0)
	s_barrier
	buffer_gl0_inv
	v_lshlrev_b64 v[137:138], 4, v[5:6]
	v_add_nc_u32_e32 v203, 0, v1
	v_sub_nc_u32_e32 v11, 0, v1
	s_add_u32 s4, s12, 0xef60
	s_addc_u32 s5, s13, 0
	s_mov_b32 s1, exec_lo
	ds_read_b64 v[7:8], v203
	ds_read_b64 v[9:10], v11 offset:61440
	s_waitcnt lgkmcnt(0)
	v_add_f64 v[1:2], v[7:8], v[9:10]
	v_add_f64 v[3:4], v[7:8], -v[9:10]
	v_cmpx_ne_u32_e32 0, v125
	s_xor_b32 s1, exec_lo, s1
	s_cbranch_execz .LBB0_17
; %bb.16:
	v_add_co_u32 v1, s0, s4, v137
	v_add_co_ci_u32_e64 v2, s0, s5, v138, s0
	v_add_f64 v[14:15], v[7:8], v[9:10]
	v_add_f64 v[9:10], v[7:8], -v[9:10]
	global_load_dwordx4 v[3:6], v[1:2], off
	ds_read_b64 v[1:2], v11 offset:61448
	ds_read_b64 v[12:13], v203 offset:8
	s_waitcnt lgkmcnt(0)
	v_add_f64 v[7:8], v[1:2], v[12:13]
	v_add_f64 v[1:2], v[12:13], -v[1:2]
	s_waitcnt vmcnt(0)
	v_fma_f64 v[12:13], v[9:10], v[5:6], v[14:15]
	v_fma_f64 v[14:15], -v[9:10], v[5:6], v[14:15]
	v_fma_f64 v[16:17], v[7:8], v[5:6], -v[1:2]
	v_fma_f64 v[18:19], v[7:8], v[5:6], v[1:2]
	v_fma_f64 v[1:2], -v[7:8], v[3:4], v[12:13]
	v_fma_f64 v[5:6], v[7:8], v[3:4], v[14:15]
	v_fma_f64 v[7:8], v[9:10], v[3:4], v[16:17]
	;; [unrolled: 1-line block ×3, first 2 shown]
	ds_write_b128 v11, v[5:8] offset:61440
.LBB0_17:
	s_andn2_saveexec_b32 s0, s1
	s_cbranch_execz .LBB0_19
; %bb.18:
	v_mov_b32_e32 v9, 0
	ds_read_b128 v[5:8], v9 offset:30720
	s_waitcnt lgkmcnt(0)
	v_add_f64 v[5:6], v[5:6], v[5:6]
	v_mul_f64 v[7:8], v[7:8], -2.0
	ds_write_b128 v9, v[5:8] offset:30720
.LBB0_19:
	s_or_b32 exec_lo, exec_lo, s0
	ds_write_b128 v203, v[1:4]
	ds_read_b128 v[1:4], v203 offset:2048
	ds_read_b128 v[5:8], v11 offset:59392
	v_or_b32_e32 v127, 0x80, v125
	v_mov_b32_e32 v128, 0
	v_or_b32_e32 v172, 0x100, v125
	v_or_b32_e32 v151, 0x180, v125
	;; [unrolled: 1-line block ×4, first 2 shown]
	v_lshlrev_b64 v[153:154], 4, v[127:128]
	v_mov_b32_e32 v173, v128
	v_mov_b32_e32 v152, v128
	;; [unrolled: 1-line block ×5, first 2 shown]
	v_lshlrev_b64 v[155:156], 4, v[172:173]
	v_lshlrev_b64 v[143:144], 4, v[151:152]
	;; [unrolled: 1-line block ×4, first 2 shown]
	v_or_b32_e32 v170, 0x300, v125
	v_or_b32_e32 v157, 0x400, v125
	v_mov_b32_e32 v158, v128
	s_waitcnt lgkmcnt(0)
	v_add_f64 v[9:10], v[1:2], v[5:6]
	v_add_f64 v[14:15], v[1:2], -v[5:6]
	v_add_co_u32 v1, s0, s4, v153
	v_add_co_ci_u32_e64 v2, s0, s5, v154, s0
	v_add_f64 v[12:13], v[7:8], v[3:4]
	v_add_f64 v[16:17], v[3:4], -v[7:8]
	v_lshlrev_b64 v[149:150], 4, v[170:171]
	global_load_dwordx4 v[1:4], v[1:2], off
	v_or_b32_e32 v171, 0x380, v0
	v_mov_b32_e32 v159, v128
	v_mov_b32_e32 v160, v128
	v_mov_b32_e32 v161, v128
	v_mov_b32_e32 v162, v128
	v_lshlrev_b32_e32 v166, 4, v171
	v_mov_b32_e32 v163, v128
	v_mov_b32_e32 v164, v128
	s_mov_b32 s8, 0x134454ff
	s_mov_b32 s9, 0xbfee6f0e
	v_add_nc_u32_e32 v152, 0, v166
	s_mov_b32 s1, 0x3fee6f0e
	s_mov_b32 s14, 0x4755a5e
	s_mov_b32 s15, 0xbfe2cf23
	s_mov_b32 s6, 0x372fe950
	s_mov_b32 s7, 0x3fd3c6ef
	s_mov_b32 s16, 0x9b97f4a8
	s_mov_b32 s17, 0x3fe9e377
	s_mov_b32 s19, 0xbfd3c6ef
	s_mov_b32 s18, s6
	s_mov_b32 s21, 0xbfe9e377
	s_mov_b32 s20, s16
	v_and_b32_e32 v126, 0xff, v125
	v_mov_b32_e32 v129, 5
	v_and_b32_e32 v204, 0xff, v127
	v_subrev_nc_u32_e32 v0, 64, v0
	s_waitcnt vmcnt(0)
	v_fma_f64 v[5:6], v[14:15], v[3:4], v[9:10]
	v_fma_f64 v[7:8], v[12:13], v[3:4], v[16:17]
	v_fma_f64 v[5:6], -v[12:13], v[1:2], v[5:6]
	v_fma_f64 v[7:8], v[14:15], v[1:2], v[7:8]
	ds_write_b128 v203, v[5:8] offset:2048
	v_fma_f64 v[5:6], -v[14:15], v[3:4], v[9:10]
	v_fma_f64 v[3:4], v[12:13], v[3:4], -v[16:17]
	v_fma_f64 v[5:6], v[12:13], v[1:2], v[5:6]
	v_fma_f64 v[7:8], v[14:15], v[1:2], v[3:4]
	ds_write_b128 v11, v[5:8] offset:59392
	ds_read_b128 v[1:4], v203 offset:4096
	ds_read_b128 v[5:8], v11 offset:57344
	s_waitcnt lgkmcnt(0)
	v_add_f64 v[9:10], v[1:2], v[5:6]
	v_add_f64 v[14:15], v[1:2], -v[5:6]
	v_add_co_u32 v1, s0, s4, v155
	v_add_co_ci_u32_e64 v2, s0, s5, v156, s0
	v_add_f64 v[12:13], v[7:8], v[3:4]
	v_add_f64 v[16:17], v[3:4], -v[7:8]
	global_load_dwordx4 v[1:4], v[1:2], off
	s_waitcnt vmcnt(0)
	v_fma_f64 v[5:6], v[14:15], v[3:4], v[9:10]
	v_fma_f64 v[7:8], v[12:13], v[3:4], v[16:17]
	v_fma_f64 v[5:6], -v[12:13], v[1:2], v[5:6]
	v_fma_f64 v[7:8], v[14:15], v[1:2], v[7:8]
	ds_write_b128 v203, v[5:8] offset:4096
	v_fma_f64 v[5:6], -v[14:15], v[3:4], v[9:10]
	v_fma_f64 v[3:4], v[12:13], v[3:4], -v[16:17]
	v_fma_f64 v[5:6], v[12:13], v[1:2], v[5:6]
	v_fma_f64 v[7:8], v[14:15], v[1:2], v[3:4]
	ds_write_b128 v11, v[5:8] offset:57344
	ds_read_b128 v[1:4], v203 offset:6144
	ds_read_b128 v[5:8], v11 offset:55296
	s_waitcnt lgkmcnt(0)
	v_add_f64 v[9:10], v[1:2], v[5:6]
	v_add_f64 v[14:15], v[1:2], -v[5:6]
	v_add_co_u32 v1, s0, s4, v143
	v_add_co_ci_u32_e64 v2, s0, s5, v144, s0
	v_add_f64 v[12:13], v[7:8], v[3:4]
	v_add_f64 v[16:17], v[3:4], -v[7:8]
	global_load_dwordx4 v[1:4], v[1:2], off
	;; [unrolled: 21-line block ×5, first 2 shown]
	s_waitcnt vmcnt(0)
	v_fma_f64 v[5:6], v[14:15], v[3:4], v[9:10]
	v_fma_f64 v[7:8], v[12:13], v[3:4], v[16:17]
	v_fma_f64 v[5:6], -v[12:13], v[1:2], v[5:6]
	v_fma_f64 v[7:8], v[14:15], v[1:2], v[7:8]
	ds_write_b128 v203, v[5:8] offset:12288
	v_fma_f64 v[5:6], -v[14:15], v[3:4], v[9:10]
	v_fma_f64 v[3:4], v[12:13], v[3:4], -v[16:17]
	v_fma_f64 v[5:6], v[12:13], v[1:2], v[5:6]
	v_fma_f64 v[7:8], v[14:15], v[1:2], v[3:4]
	ds_write_b128 v11, v[5:8] offset:49152
	ds_read_b128 v[1:4], v152
	ds_read_b128 v[5:8], v11 offset:47104
	s_waitcnt lgkmcnt(0)
	v_add_f64 v[9:10], v[1:2], v[5:6]
	v_add_f64 v[12:13], v[7:8], v[3:4]
	v_add_f64 v[14:15], v[1:2], -v[5:6]
	v_add_f64 v[16:17], v[3:4], -v[7:8]
	global_load_dwordx4 v[1:4], v166, s[4:5]
	s_waitcnt vmcnt(0)
	v_fma_f64 v[5:6], v[14:15], v[3:4], v[9:10]
	v_fma_f64 v[7:8], v[12:13], v[3:4], v[16:17]
	v_fma_f64 v[5:6], -v[12:13], v[1:2], v[5:6]
	v_fma_f64 v[7:8], v[14:15], v[1:2], v[7:8]
	ds_write_b128 v152, v[5:8]
	v_fma_f64 v[5:6], -v[14:15], v[3:4], v[9:10]
	v_fma_f64 v[3:4], v[12:13], v[3:4], -v[16:17]
	v_fma_f64 v[5:6], v[12:13], v[1:2], v[5:6]
	v_fma_f64 v[7:8], v[14:15], v[1:2], v[3:4]
	ds_write_b128 v11, v[5:8] offset:47104
	ds_read_b128 v[1:4], v203 offset:16384
	ds_read_b128 v[5:8], v11 offset:45056
	s_waitcnt lgkmcnt(0)
	v_add_f64 v[9:10], v[1:2], v[5:6]
	v_add_f64 v[14:15], v[1:2], -v[5:6]
	v_lshlrev_b64 v[1:2], 4, v[157:158]
	buffer_store_dword v1, off, s[28:31], 0 ; 4-byte Folded Spill
	buffer_store_dword v2, off, s[28:31], 0 offset:4 ; 4-byte Folded Spill
	v_add_f64 v[12:13], v[7:8], v[3:4]
	v_add_f64 v[16:17], v[3:4], -v[7:8]
	v_or_b32_e32 v158, 0x480, v125
	v_add_co_u32 v1, s0, s4, v1
	v_add_co_ci_u32_e64 v2, s0, s5, v2, s0
	global_load_dwordx4 v[1:4], v[1:2], off
	s_waitcnt vmcnt(0)
	v_fma_f64 v[5:6], v[14:15], v[3:4], v[9:10]
	v_fma_f64 v[7:8], v[12:13], v[3:4], v[16:17]
	v_fma_f64 v[5:6], -v[12:13], v[1:2], v[5:6]
	v_fma_f64 v[7:8], v[14:15], v[1:2], v[7:8]
	ds_write_b128 v203, v[5:8] offset:16384
	v_fma_f64 v[5:6], -v[14:15], v[3:4], v[9:10]
	v_fma_f64 v[3:4], v[12:13], v[3:4], -v[16:17]
	v_fma_f64 v[5:6], v[12:13], v[1:2], v[5:6]
	v_fma_f64 v[7:8], v[14:15], v[1:2], v[3:4]
	ds_write_b128 v11, v[5:8] offset:45056
	ds_read_b128 v[1:4], v203 offset:18432
	ds_read_b128 v[5:8], v11 offset:43008
	s_waitcnt lgkmcnt(0)
	v_add_f64 v[9:10], v[1:2], v[5:6]
	v_add_f64 v[14:15], v[1:2], -v[5:6]
	v_lshlrev_b64 v[1:2], 4, v[158:159]
	buffer_store_dword v1, off, s[28:31], 0 offset:8 ; 4-byte Folded Spill
	buffer_store_dword v2, off, s[28:31], 0 offset:12 ; 4-byte Folded Spill
	v_add_f64 v[12:13], v[7:8], v[3:4]
	v_add_f64 v[16:17], v[3:4], -v[7:8]
	v_or_b32_e32 v159, 0x500, v125
	v_add_co_u32 v1, s0, s4, v1
	v_add_co_ci_u32_e64 v2, s0, s5, v2, s0
	global_load_dwordx4 v[1:4], v[1:2], off
	s_waitcnt vmcnt(0)
	v_fma_f64 v[5:6], v[14:15], v[3:4], v[9:10]
	v_fma_f64 v[7:8], v[12:13], v[3:4], v[16:17]
	v_fma_f64 v[5:6], -v[12:13], v[1:2], v[5:6]
	v_fma_f64 v[7:8], v[14:15], v[1:2], v[7:8]
	ds_write_b128 v203, v[5:8] offset:18432
	v_fma_f64 v[5:6], -v[14:15], v[3:4], v[9:10]
	v_fma_f64 v[3:4], v[12:13], v[3:4], -v[16:17]
	v_fma_f64 v[5:6], v[12:13], v[1:2], v[5:6]
	v_fma_f64 v[7:8], v[14:15], v[1:2], v[3:4]
	ds_write_b128 v11, v[5:8] offset:43008
	ds_read_b128 v[1:4], v203 offset:20480
	ds_read_b128 v[5:8], v11 offset:40960
	s_waitcnt lgkmcnt(0)
	v_add_f64 v[9:10], v[1:2], v[5:6]
	v_add_f64 v[14:15], v[1:2], -v[5:6]
	v_lshlrev_b64 v[1:2], 4, v[159:160]
	buffer_store_dword v1, off, s[28:31], 0 offset:16 ; 4-byte Folded Spill
	;; [unrolled: 25-line block ×4, first 2 shown]
	buffer_store_dword v2, off, s[28:31], 0 offset:36 ; 4-byte Folded Spill
	v_add_f64 v[12:13], v[7:8], v[3:4]
	v_add_f64 v[16:17], v[3:4], -v[7:8]
	v_or_b32_e32 v162, 0x680, v125
	v_lshlrev_b64 v[139:140], 4, v[162:163]
	v_or_b32_e32 v163, 0x700, v125
	v_lshlrev_b64 v[141:142], 4, v[163:164]
	v_add_co_u32 v1, s0, s4, v1
	v_add_co_ci_u32_e64 v2, s0, s5, v2, s0
	global_load_dwordx4 v[1:4], v[1:2], off
	s_waitcnt vmcnt(0)
	v_fma_f64 v[5:6], v[14:15], v[3:4], v[9:10]
	v_fma_f64 v[7:8], v[12:13], v[3:4], v[16:17]
	v_fma_f64 v[5:6], -v[12:13], v[1:2], v[5:6]
	v_fma_f64 v[7:8], v[14:15], v[1:2], v[7:8]
	ds_write_b128 v203, v[5:8] offset:24576
	v_fma_f64 v[5:6], -v[14:15], v[3:4], v[9:10]
	v_fma_f64 v[3:4], v[12:13], v[3:4], -v[16:17]
	v_fma_f64 v[5:6], v[12:13], v[1:2], v[5:6]
	v_fma_f64 v[7:8], v[14:15], v[1:2], v[3:4]
	ds_write_b128 v11, v[5:8] offset:36864
	ds_read_b128 v[1:4], v203 offset:26624
	ds_read_b128 v[5:8], v11 offset:34816
	s_waitcnt lgkmcnt(0)
	v_add_f64 v[9:10], v[1:2], v[5:6]
	v_add_f64 v[14:15], v[1:2], -v[5:6]
	v_add_co_u32 v1, s0, s4, v139
	v_add_co_ci_u32_e64 v2, s0, s5, v140, s0
	v_add_f64 v[12:13], v[7:8], v[3:4]
	v_add_f64 v[16:17], v[3:4], -v[7:8]
	global_load_dwordx4 v[1:4], v[1:2], off
	s_waitcnt vmcnt(0)
	v_fma_f64 v[5:6], v[14:15], v[3:4], v[9:10]
	v_fma_f64 v[7:8], v[12:13], v[3:4], v[16:17]
	v_fma_f64 v[5:6], -v[12:13], v[1:2], v[5:6]
	v_fma_f64 v[7:8], v[14:15], v[1:2], v[7:8]
	ds_write_b128 v203, v[5:8] offset:26624
	v_fma_f64 v[5:6], -v[14:15], v[3:4], v[9:10]
	v_fma_f64 v[3:4], v[12:13], v[3:4], -v[16:17]
	v_fma_f64 v[5:6], v[12:13], v[1:2], v[5:6]
	v_fma_f64 v[7:8], v[14:15], v[1:2], v[3:4]
	ds_write_b128 v11, v[5:8] offset:34816
	ds_read_b128 v[1:4], v203 offset:28672
	ds_read_b128 v[5:8], v11 offset:32768
	s_waitcnt lgkmcnt(0)
	v_add_f64 v[9:10], v[1:2], v[5:6]
	v_add_f64 v[14:15], v[1:2], -v[5:6]
	v_add_co_u32 v1, s0, s4, v141
	v_add_co_ci_u32_e64 v2, s0, s5, v142, s0
	v_add_f64 v[12:13], v[7:8], v[3:4]
	v_add_f64 v[16:17], v[3:4], -v[7:8]
	s_mov_b32 s0, s8
	global_load_dwordx4 v[1:4], v[1:2], off
	s_mov_b32 s5, 0x3fe2cf23
	s_mov_b32 s4, s14
	s_waitcnt vmcnt(0)
	v_fma_f64 v[5:6], v[14:15], v[3:4], v[9:10]
	v_fma_f64 v[7:8], v[12:13], v[3:4], v[16:17]
	v_fma_f64 v[5:6], -v[12:13], v[1:2], v[5:6]
	v_fma_f64 v[7:8], v[14:15], v[1:2], v[7:8]
	ds_write_b128 v203, v[5:8] offset:28672
	v_fma_f64 v[5:6], -v[14:15], v[3:4], v[9:10]
	v_fma_f64 v[3:4], v[12:13], v[3:4], -v[16:17]
	v_fma_f64 v[5:6], v[12:13], v[1:2], v[5:6]
	v_fma_f64 v[7:8], v[14:15], v[1:2], v[3:4]
	ds_write_b128 v11, v[5:8] offset:32768
	s_waitcnt lgkmcnt(0)
	s_waitcnt_vscnt null, 0x0
	s_barrier
	buffer_gl0_inv
	s_barrier
	buffer_gl0_inv
	ds_read_b128 v[69:72], v203
	ds_read_b128 v[49:52], v203 offset:6144
	ds_read_b128 v[61:64], v203 offset:12288
	;; [unrolled: 1-line block ×29, first 2 shown]
	s_waitcnt lgkmcnt(23)
	v_add_f64 v[175:176], v[65:66], v[73:74]
	s_waitcnt lgkmcnt(21)
	v_add_f64 v[179:180], v[63:64], -v[79:80]
	v_add_f64 v[181:182], v[67:68], -v[75:76]
	v_add_f64 v[183:184], v[61:62], -v[65:66]
	v_add_f64 v[185:186], v[77:78], -v[73:74]
	v_add_f64 v[173:174], v[69:70], v[61:62]
	v_add_f64 v[187:188], v[73:74], -v[77:78]
	s_waitcnt lgkmcnt(0)
	s_barrier
	buffer_gl0_inv
	v_fma_f64 v[177:178], v[175:176], -0.5, v[69:70]
	v_add_f64 v[183:184], v[183:184], v[185:186]
	v_add_f64 v[185:186], v[65:66], -v[61:62]
	v_add_f64 v[173:174], v[173:174], v[65:66]
	v_add_f64 v[65:66], v[65:66], -v[73:74]
	v_fma_f64 v[175:176], v[179:180], s[8:9], v[177:178]
	v_fma_f64 v[177:178], v[179:180], s[0:1], v[177:178]
	v_add_f64 v[185:186], v[185:186], v[187:188]
	v_add_f64 v[173:174], v[173:174], v[73:74]
	v_fma_f64 v[175:176], v[181:182], s[14:15], v[175:176]
	v_fma_f64 v[177:178], v[181:182], s[4:5], v[177:178]
	v_add_f64 v[173:174], v[173:174], v[77:78]
	v_fma_f64 v[175:176], v[183:184], s[6:7], v[175:176]
	v_fma_f64 v[177:178], v[183:184], s[6:7], v[177:178]
	v_add_f64 v[183:184], v[61:62], v[77:78]
	v_add_f64 v[61:62], v[61:62], -v[77:78]
	v_fma_f64 v[69:70], v[183:184], -0.5, v[69:70]
	v_fma_f64 v[183:184], v[181:182], s[0:1], v[69:70]
	v_fma_f64 v[69:70], v[181:182], s[8:9], v[69:70]
	;; [unrolled: 1-line block ×6, first 2 shown]
	v_add_f64 v[69:70], v[71:72], v[63:64]
	v_add_f64 v[185:186], v[79:80], -v[75:76]
	v_add_f64 v[69:70], v[69:70], v[67:68]
	v_add_f64 v[69:70], v[69:70], v[75:76]
	;; [unrolled: 1-line block ×4, first 2 shown]
	v_fma_f64 v[69:70], v[69:70], -0.5, v[71:72]
	v_fma_f64 v[77:78], v[61:62], s[0:1], v[69:70]
	v_fma_f64 v[69:70], v[61:62], s[8:9], v[69:70]
	v_fma_f64 v[73:74], v[65:66], s[4:5], v[77:78]
	v_add_f64 v[77:78], v[63:64], -v[67:68]
	v_fma_f64 v[69:70], v[65:66], s[14:15], v[69:70]
	v_add_f64 v[77:78], v[77:78], v[185:186]
	v_fma_f64 v[187:188], v[77:78], s[6:7], v[69:70]
	v_add_f64 v[69:70], v[63:64], v[79:80]
	v_add_f64 v[63:64], v[67:68], -v[63:64]
	v_add_f64 v[67:68], v[75:76], -v[79:80]
	v_fma_f64 v[185:186], v[77:78], s[6:7], v[73:74]
	v_fma_f64 v[69:70], v[69:70], -0.5, v[71:72]
	v_add_f64 v[63:64], v[63:64], v[67:68]
	v_add_f64 v[67:68], v[47:48], -v[55:56]
	v_fma_f64 v[71:72], v[65:66], s[8:9], v[69:70]
	v_fma_f64 v[65:66], v[65:66], s[0:1], v[69:70]
	v_add_f64 v[69:70], v[41:42], -v[45:46]
	v_fma_f64 v[71:72], v[61:62], s[4:5], v[71:72]
	v_fma_f64 v[61:62], v[61:62], s[14:15], v[65:66]
	;; [unrolled: 1-line block ×4, first 2 shown]
	v_add_f64 v[61:62], v[49:50], v[41:42]
	v_add_f64 v[63:64], v[43:44], -v[59:60]
	v_add_f64 v[71:72], v[57:58], -v[53:54]
	v_add_f64 v[61:62], v[61:62], v[45:46]
	v_add_f64 v[69:70], v[69:70], v[71:72]
	;; [unrolled: 1-line block ×5, first 2 shown]
	v_fma_f64 v[61:62], v[61:62], -0.5, v[49:50]
	v_fma_f64 v[65:66], v[63:64], s[8:9], v[61:62]
	v_fma_f64 v[61:62], v[63:64], s[0:1], v[61:62]
	;; [unrolled: 1-line block ×6, first 2 shown]
	v_add_f64 v[61:62], v[41:42], v[57:58]
	v_add_f64 v[65:66], v[45:46], -v[41:42]
	v_add_f64 v[69:70], v[53:54], -v[57:58]
	v_add_f64 v[41:42], v[41:42], -v[57:58]
	v_add_f64 v[45:46], v[45:46], -v[53:54]
	v_fma_f64 v[49:50], v[61:62], -0.5, v[49:50]
	v_add_f64 v[65:66], v[65:66], v[69:70]
	v_fma_f64 v[61:62], v[67:68], s[0:1], v[49:50]
	v_fma_f64 v[49:50], v[67:68], s[8:9], v[49:50]
	;; [unrolled: 1-line block ×4, first 2 shown]
	v_add_f64 v[63:64], v[59:60], -v[55:56]
	v_fma_f64 v[75:76], v[65:66], s[6:7], v[61:62]
	v_add_f64 v[61:62], v[51:52], v[43:44]
	v_fma_f64 v[49:50], v[65:66], s[6:7], v[49:50]
	v_add_f64 v[61:62], v[61:62], v[47:48]
	v_add_f64 v[61:62], v[61:62], v[55:56]
	;; [unrolled: 1-line block ×4, first 2 shown]
	v_fma_f64 v[61:62], v[61:62], -0.5, v[51:52]
	v_fma_f64 v[57:58], v[41:42], s[0:1], v[61:62]
	v_fma_f64 v[61:62], v[41:42], s[8:9], v[61:62]
	;; [unrolled: 1-line block ×3, first 2 shown]
	v_add_f64 v[57:58], v[43:44], -v[47:48]
	v_fma_f64 v[61:62], v[45:46], s[14:15], v[61:62]
	v_add_f64 v[57:58], v[57:58], v[63:64]
	v_add_f64 v[63:64], v[181:182], v[195:196]
	v_fma_f64 v[53:54], v[57:58], s[6:7], v[53:54]
	v_fma_f64 v[57:58], v[57:58], s[6:7], v[61:62]
	v_add_f64 v[61:62], v[43:44], v[59:60]
	v_add_f64 v[43:44], v[47:48], -v[43:44]
	v_add_f64 v[47:48], v[55:56], -v[59:60]
	v_mul_f64 v[59:60], v[71:72], s[4:5]
	v_mul_f64 v[55:56], v[57:58], s[14:15]
	v_fma_f64 v[51:52], v[61:62], -0.5, v[51:52]
	v_add_f64 v[43:44], v[43:44], v[47:48]
	v_fma_f64 v[197:198], v[53:54], s[16:17], v[59:60]
	v_add_f64 v[59:60], v[181:182], -v[195:196]
	v_add_f64 v[181:182], v[115:116], -v[103:104]
	v_fma_f64 v[55:56], v[79:80], s[20:21], v[55:56]
	v_fma_f64 v[61:62], v[45:46], s[8:9], v[51:52]
	;; [unrolled: 1-line block ×3, first 2 shown]
	v_add_f64 v[67:68], v[185:186], v[197:198]
	v_add_f64 v[77:78], v[177:178], v[55:56]
	v_fma_f64 v[61:62], v[41:42], s[4:5], v[61:62]
	v_fma_f64 v[41:42], v[41:42], s[14:15], v[45:46]
	;; [unrolled: 1-line block ×4, first 2 shown]
	v_mul_f64 v[43:44], v[53:54], s[14:15]
	v_add_f64 v[61:62], v[173:174], v[193:194]
	v_mul_f64 v[45:46], v[47:48], s[8:9]
	v_mul_f64 v[51:52], v[41:42], s[8:9]
	v_fma_f64 v[43:44], v[71:72], s[16:17], v[43:44]
	v_mul_f64 v[41:42], v[41:42], s[18:19]
	v_mul_f64 v[47:48], v[47:48], s[6:7]
	v_fma_f64 v[45:46], v[75:76], s[6:7], v[45:46]
	v_fma_f64 v[51:52], v[49:50], s[18:19], v[51:52]
	v_add_f64 v[65:66], v[175:176], v[43:44]
	v_fma_f64 v[199:200], v[49:50], s[0:1], v[41:42]
	v_mul_f64 v[41:42], v[57:58], s[20:21]
	v_add_f64 v[53:54], v[175:176], -v[43:44]
	v_add_f64 v[175:176], v[113:114], v[101:102]
	v_add_f64 v[57:58], v[173:174], -v[193:194]
	v_add_f64 v[173:174], v[117:118], v[109:110]
	v_fma_f64 v[47:48], v[75:76], s[0:1], v[47:48]
	v_add_f64 v[69:70], v[183:184], v[45:46]
	v_add_f64 v[73:74], v[179:180], v[51:52]
	v_add_f64 v[49:50], v[183:184], -v[45:46]
	v_add_f64 v[45:46], v[179:180], -v[51:52]
	v_fma_f64 v[201:202], v[79:80], s[4:5], v[41:42]
	v_add_f64 v[41:42], v[177:178], -v[55:56]
	v_fma_f64 v[175:176], v[175:176], -0.5, v[117:118]
	v_add_f64 v[177:178], v[111:112], -v[107:108]
	v_add_f64 v[55:56], v[185:186], -v[197:198]
	;; [unrolled: 1-line block ×4, first 2 shown]
	v_add_f64 v[173:174], v[173:174], v[113:114]
	v_add_f64 v[71:72], v[189:190], v[47:48]
	;; [unrolled: 1-line block ×3, first 2 shown]
	v_add_f64 v[51:52], v[189:190], -v[47:48]
	v_add_f64 v[47:48], v[191:192], -v[199:200]
	v_add_f64 v[79:80], v[187:188], v[201:202]
	v_add_f64 v[43:44], v[187:188], -v[201:202]
	v_add_f64 v[187:188], v[101:102], -v[105:106]
	v_fma_f64 v[179:180], v[177:178], s[8:9], v[175:176]
	v_fma_f64 v[175:176], v[177:178], s[0:1], v[175:176]
	v_add_f64 v[183:184], v[183:184], v[185:186]
	v_add_f64 v[185:186], v[113:114], -v[109:110]
	v_add_f64 v[173:174], v[173:174], v[101:102]
	v_add_f64 v[101:102], v[113:114], -v[101:102]
	v_add_f64 v[113:114], v[111:112], -v[115:116]
	v_fma_f64 v[179:180], v[181:182], s[14:15], v[179:180]
	v_fma_f64 v[175:176], v[181:182], s[4:5], v[175:176]
	v_add_f64 v[185:186], v[185:186], v[187:188]
	v_add_f64 v[173:174], v[173:174], v[105:106]
	v_fma_f64 v[179:180], v[183:184], s[6:7], v[179:180]
	v_fma_f64 v[175:176], v[183:184], s[6:7], v[175:176]
	v_add_f64 v[183:184], v[109:110], v[105:106]
	v_add_f64 v[105:106], v[109:110], -v[105:106]
	v_fma_f64 v[117:118], v[183:184], -0.5, v[117:118]
	v_fma_f64 v[183:184], v[181:182], s[0:1], v[117:118]
	v_fma_f64 v[117:118], v[181:182], s[8:9], v[117:118]
	;; [unrolled: 1-line block ×6, first 2 shown]
	v_add_f64 v[117:118], v[119:120], v[111:112]
	v_add_f64 v[185:186], v[107:108], -v[103:104]
	v_add_f64 v[117:118], v[117:118], v[115:116]
	v_add_f64 v[113:114], v[113:114], v[185:186]
	;; [unrolled: 1-line block ×5, first 2 shown]
	v_add_f64 v[103:104], v[103:104], -v[107:108]
	v_fma_f64 v[117:118], v[117:118], -0.5, v[119:120]
	v_fma_f64 v[109:110], v[105:106], s[0:1], v[117:118]
	v_fma_f64 v[109:110], v[101:102], s[4:5], v[109:110]
	;; [unrolled: 1-line block ×6, first 2 shown]
	v_add_f64 v[109:110], v[111:112], v[107:108]
	v_add_f64 v[111:112], v[115:116], -v[111:112]
	v_add_f64 v[107:108], v[95:96], -v[83:84]
	v_fma_f64 v[109:110], v[109:110], -0.5, v[119:120]
	v_add_f64 v[103:104], v[111:112], v[103:104]
	v_add_f64 v[111:112], v[85:86], -v[81:82]
	v_fma_f64 v[113:114], v[101:102], s[8:9], v[109:110]
	v_fma_f64 v[101:102], v[101:102], s[0:1], v[109:110]
	v_add_f64 v[109:110], v[89:90], -v[93:94]
	v_fma_f64 v[113:114], v[105:106], s[4:5], v[113:114]
	v_fma_f64 v[101:102], v[105:106], s[14:15], v[101:102]
	v_add_f64 v[109:110], v[109:110], v[111:112]
	v_fma_f64 v[189:190], v[103:104], s[6:7], v[113:114]
	v_fma_f64 v[191:192], v[103:104], s[6:7], v[101:102]
	v_add_f64 v[101:102], v[97:98], v[89:90]
	v_add_f64 v[103:104], v[91:92], -v[87:88]
	v_add_f64 v[101:102], v[101:102], v[93:94]
	v_add_f64 v[101:102], v[101:102], v[81:82]
	;; [unrolled: 1-line block ×4, first 2 shown]
	v_fma_f64 v[101:102], v[101:102], -0.5, v[97:98]
	v_fma_f64 v[105:106], v[103:104], s[8:9], v[101:102]
	v_fma_f64 v[101:102], v[103:104], s[0:1], v[101:102]
	v_fma_f64 v[105:106], v[107:108], s[14:15], v[105:106]
	v_fma_f64 v[101:102], v[107:108], s[4:5], v[101:102]
	v_fma_f64 v[111:112], v[109:110], s[6:7], v[105:106]
	v_fma_f64 v[119:120], v[109:110], s[6:7], v[101:102]
	v_add_f64 v[101:102], v[89:90], v[85:86]
	v_add_f64 v[105:106], v[93:94], -v[89:90]
	v_add_f64 v[109:110], v[81:82], -v[85:86]
	;; [unrolled: 1-line block ×5, first 2 shown]
	v_fma_f64 v[97:98], v[101:102], -0.5, v[97:98]
	v_add_f64 v[105:106], v[105:106], v[109:110]
	v_fma_f64 v[101:102], v[107:108], s[0:1], v[97:98]
	v_fma_f64 v[97:98], v[107:108], s[8:9], v[97:98]
	;; [unrolled: 1-line block ×4, first 2 shown]
	v_add_f64 v[103:104], v[87:88], -v[83:84]
	v_fma_f64 v[115:116], v[105:106], s[6:7], v[101:102]
	v_add_f64 v[101:102], v[99:100], v[91:92]
	v_add_f64 v[93:94], v[93:94], v[103:104]
	v_fma_f64 v[97:98], v[105:106], s[6:7], v[97:98]
	v_add_f64 v[101:102], v[101:102], v[95:96]
	v_add_f64 v[101:102], v[101:102], v[83:84]
	;; [unrolled: 1-line block ×4, first 2 shown]
	v_add_f64 v[83:84], v[83:84], -v[87:88]
	v_add_f64 v[103:104], v[181:182], v[195:196]
	v_fma_f64 v[101:102], v[101:102], -0.5, v[99:100]
	v_fma_f64 v[89:90], v[85:86], s[0:1], v[101:102]
	v_fma_f64 v[101:102], v[85:86], s[8:9], v[101:102]
	;; [unrolled: 1-line block ×6, first 2 shown]
	v_add_f64 v[101:102], v[91:92], v[87:88]
	v_add_f64 v[91:92], v[95:96], -v[91:92]
	v_mul_f64 v[95:96], v[93:94], s[14:15]
	v_fma_f64 v[99:100], v[101:102], -0.5, v[99:100]
	v_add_f64 v[83:84], v[91:92], v[83:84]
	v_fma_f64 v[95:96], v[119:120], s[20:21], v[95:96]
	v_fma_f64 v[101:102], v[81:82], s[8:9], v[99:100]
	;; [unrolled: 1-line block ×3, first 2 shown]
	v_mul_f64 v[99:100], v[111:112], s[4:5]
	v_add_f64 v[117:118], v[175:176], v[95:96]
	v_fma_f64 v[101:102], v[85:86], s[4:5], v[101:102]
	v_fma_f64 v[81:82], v[85:86], s[14:15], v[81:82]
	;; [unrolled: 1-line block ×3, first 2 shown]
	v_add_f64 v[99:100], v[181:182], -v[195:196]
	v_add_f64 v[181:182], v[35:36], -v[23:24]
	v_fma_f64 v[87:88], v[83:84], s[6:7], v[101:102]
	v_fma_f64 v[81:82], v[83:84], s[6:7], v[81:82]
	v_mul_f64 v[83:84], v[89:90], s[14:15]
	v_add_f64 v[107:108], v[185:186], v[197:198]
	v_add_f64 v[101:102], v[173:174], v[193:194]
	v_mul_f64 v[85:86], v[87:88], s[8:9]
	v_mul_f64 v[91:92], v[81:82], s[8:9]
	;; [unrolled: 1-line block ×3, first 2 shown]
	v_fma_f64 v[83:84], v[111:112], s[16:17], v[83:84]
	v_mul_f64 v[87:88], v[87:88], s[6:7]
	v_fma_f64 v[85:86], v[115:116], s[6:7], v[85:86]
	v_fma_f64 v[91:92], v[97:98], s[18:19], v[91:92]
	;; [unrolled: 1-line block ×3, first 2 shown]
	v_mul_f64 v[81:82], v[93:94], s[20:21]
	v_add_f64 v[105:106], v[179:180], v[83:84]
	v_add_f64 v[93:94], v[179:180], -v[83:84]
	v_add_f64 v[179:180], v[31:32], -v[27:28]
	;; [unrolled: 1-line block ×3, first 2 shown]
	v_add_f64 v[173:174], v[37:38], v[29:30]
	v_fma_f64 v[87:88], v[115:116], s[0:1], v[87:88]
	v_add_f64 v[109:110], v[183:184], v[85:86]
	v_add_f64 v[113:114], v[177:178], v[91:92]
	v_add_f64 v[89:90], v[183:184], -v[85:86]
	v_fma_f64 v[201:202], v[119:120], s[4:5], v[81:82]
	v_add_f64 v[81:82], v[175:176], -v[95:96]
	v_add_f64 v[175:176], v[33:34], v[21:22]
	v_add_f64 v[85:86], v[177:178], -v[91:92]
	v_add_f64 v[95:96], v[185:186], -v[197:198]
	;; [unrolled: 1-line block ×4, first 2 shown]
	v_add_f64 v[173:174], v[173:174], v[33:34]
	v_add_f64 v[111:112], v[189:190], v[87:88]
	v_add_f64 v[91:92], v[189:190], -v[87:88]
	v_add_f64 v[115:116], v[191:192], v[199:200]
	v_add_f64 v[87:88], v[191:192], -v[199:200]
	;; [unrolled: 2-line block ×3, first 2 shown]
	v_fma_f64 v[177:178], v[175:176], -0.5, v[37:38]
	v_add_f64 v[187:188], v[21:22], -v[25:26]
	v_add_f64 v[183:184], v[183:184], v[185:186]
	v_add_f64 v[173:174], v[173:174], v[21:22]
	v_add_f64 v[185:186], v[33:34], -v[29:30]
	v_add_f64 v[33:34], v[33:34], -v[21:22]
	v_fma_f64 v[175:176], v[179:180], s[8:9], v[177:178]
	v_fma_f64 v[177:178], v[179:180], s[0:1], v[177:178]
	v_add_f64 v[173:174], v[173:174], v[25:26]
	v_add_f64 v[185:186], v[185:186], v[187:188]
	v_fma_f64 v[175:176], v[181:182], s[14:15], v[175:176]
	v_fma_f64 v[177:178], v[181:182], s[4:5], v[177:178]
	;; [unrolled: 1-line block ×4, first 2 shown]
	v_add_f64 v[183:184], v[29:30], v[25:26]
	v_add_f64 v[29:30], v[29:30], -v[25:26]
	v_fma_f64 v[183:184], v[183:184], -0.5, v[37:38]
	v_fma_f64 v[37:38], v[181:182], s[0:1], v[183:184]
	v_fma_f64 v[181:182], v[181:182], s[8:9], v[183:184]
	v_add_f64 v[183:184], v[35:36], v[23:24]
	v_fma_f64 v[37:38], v[179:180], s[14:15], v[37:38]
	v_fma_f64 v[179:180], v[179:180], s[4:5], v[181:182]
	v_fma_f64 v[183:184], v[183:184], -0.5, v[39:40]
	v_add_f64 v[181:182], v[39:40], v[31:32]
	v_fma_f64 v[37:38], v[185:186], s[6:7], v[37:38]
	v_fma_f64 v[179:180], v[185:186], s[6:7], v[179:180]
	;; [unrolled: 1-line block ×3, first 2 shown]
	v_add_f64 v[185:186], v[27:28], -v[23:24]
	v_fma_f64 v[183:184], v[29:30], s[8:9], v[183:184]
	v_add_f64 v[181:182], v[181:182], v[35:36]
	v_fma_f64 v[21:22], v[33:34], s[4:5], v[25:26]
	v_add_f64 v[25:26], v[31:32], -v[35:36]
	v_fma_f64 v[183:184], v[33:34], s[14:15], v[183:184]
	v_add_f64 v[181:182], v[181:182], v[23:24]
	v_add_f64 v[23:24], v[23:24], -v[27:28]
	v_add_f64 v[25:26], v[25:26], v[185:186]
	v_add_f64 v[181:182], v[181:182], v[27:28]
	v_fma_f64 v[21:22], v[25:26], s[6:7], v[21:22]
	v_fma_f64 v[25:26], v[25:26], s[6:7], v[183:184]
	v_add_f64 v[183:184], v[31:32], v[27:28]
	v_add_f64 v[31:32], v[35:36], -v[31:32]
	v_fma_f64 v[39:40], v[183:184], -0.5, v[39:40]
	v_add_f64 v[23:24], v[31:32], v[23:24]
	v_fma_f64 v[183:184], v[33:34], s[8:9], v[39:40]
	v_fma_f64 v[27:28], v[33:34], s[0:1], v[39:40]
	v_add_f64 v[33:34], v[15:16], -v[3:4]
	v_add_f64 v[39:40], v[9:10], -v[13:14]
	v_fma_f64 v[183:184], v[29:30], s[4:5], v[183:184]
	v_fma_f64 v[27:28], v[29:30], s[14:15], v[27:28]
	v_add_f64 v[29:30], v[11:12], -v[7:8]
	v_fma_f64 v[195:196], v[23:24], s[6:7], v[183:184]
	v_fma_f64 v[23:24], v[23:24], s[6:7], v[27:28]
	v_add_f64 v[27:28], v[17:18], v[9:10]
	v_add_f64 v[183:184], v[5:6], -v[1:2]
	v_add_f64 v[27:28], v[27:28], v[13:14]
	v_add_f64 v[39:40], v[39:40], v[183:184]
	v_add_f64 v[183:184], v[1:2], -v[5:6]
	v_add_f64 v[27:28], v[27:28], v[1:2]
	v_add_f64 v[35:36], v[27:28], v[5:6]
	;; [unrolled: 1-line block ×3, first 2 shown]
	v_add_f64 v[1:2], v[13:14], -v[1:2]
	v_fma_f64 v[27:28], v[27:28], -0.5, v[17:18]
	v_fma_f64 v[31:32], v[29:30], s[8:9], v[27:28]
	v_fma_f64 v[27:28], v[29:30], s[0:1], v[27:28]
	v_fma_f64 v[31:32], v[33:34], s[14:15], v[31:32]
	v_fma_f64 v[27:28], v[33:34], s[4:5], v[27:28]
	v_fma_f64 v[185:186], v[39:40], s[6:7], v[31:32]
	v_fma_f64 v[39:40], v[39:40], s[6:7], v[27:28]
	v_add_f64 v[27:28], v[9:10], v[5:6]
	v_add_f64 v[31:32], v[13:14], -v[9:10]
	v_add_f64 v[5:6], v[9:10], -v[5:6]
	;; [unrolled: 1-line block ×3, first 2 shown]
	v_fma_f64 v[17:18], v[27:28], -0.5, v[17:18]
	v_add_f64 v[31:32], v[31:32], v[183:184]
	v_fma_f64 v[27:28], v[33:34], s[0:1], v[17:18]
	v_fma_f64 v[17:18], v[33:34], s[8:9], v[17:18]
	;; [unrolled: 1-line block ×4, first 2 shown]
	v_add_f64 v[29:30], v[7:8], -v[3:4]
	v_fma_f64 v[189:190], v[31:32], s[6:7], v[27:28]
	v_add_f64 v[27:28], v[19:20], v[11:12]
	v_add_f64 v[13:14], v[13:14], v[29:30]
	v_fma_f64 v[17:18], v[31:32], s[6:7], v[17:18]
	v_add_f64 v[27:28], v[27:28], v[15:16]
	v_add_f64 v[27:28], v[27:28], v[3:4]
	;; [unrolled: 1-line block ×4, first 2 shown]
	v_add_f64 v[3:4], v[3:4], -v[7:8]
	v_add_f64 v[29:30], v[181:182], v[197:198]
	v_fma_f64 v[27:28], v[27:28], -0.5, v[19:20]
	v_fma_f64 v[9:10], v[5:6], s[0:1], v[27:28]
	v_fma_f64 v[27:28], v[5:6], s[8:9], v[27:28]
	;; [unrolled: 1-line block ×6, first 2 shown]
	v_add_f64 v[27:28], v[11:12], v[7:8]
	v_add_f64 v[11:12], v[15:16], -v[11:12]
	v_mul_f64 v[15:16], v[13:14], s[14:15]
	v_fma_f64 v[19:20], v[27:28], -0.5, v[19:20]
	v_add_f64 v[3:4], v[11:12], v[3:4]
	v_fma_f64 v[15:16], v[39:40], s[20:21], v[15:16]
	v_fma_f64 v[27:28], v[1:2], s[8:9], v[19:20]
	;; [unrolled: 1-line block ×3, first 2 shown]
	v_mul_f64 v[19:20], v[185:186], s[4:5]
	v_add_f64 v[191:192], v[177:178], v[15:16]
	v_fma_f64 v[27:28], v[5:6], s[4:5], v[27:28]
	v_fma_f64 v[1:2], v[5:6], s[14:15], v[1:2]
	;; [unrolled: 1-line block ×5, first 2 shown]
	v_mul_f64 v[3:4], v[9:10], s[14:15]
	v_add_f64 v[27:28], v[173:174], v[35:36]
	v_add_f64 v[33:34], v[21:22], v[19:20]
	v_add_f64 v[35:36], v[173:174], -v[35:36]
	v_mul_f64 v[5:6], v[7:8], s[8:9]
	v_mul_f64 v[11:12], v[1:2], s[8:9]
	;; [unrolled: 1-line block ×4, first 2 shown]
	v_fma_f64 v[3:4], v[185:186], s[16:17], v[3:4]
	v_fma_f64 v[5:6], v[189:190], s[6:7], v[5:6]
	;; [unrolled: 1-line block ×4, first 2 shown]
	v_mul_f64 v[1:2], v[13:14], s[20:21]
	v_fma_f64 v[7:8], v[189:190], s[0:1], v[7:8]
	v_add_f64 v[31:32], v[175:176], v[3:4]
	v_add_f64 v[13:14], v[175:176], -v[3:4]
	s_mov_b32 s1, 0x3febb67a
	v_add_f64 v[183:184], v[37:38], v[5:6]
	v_add_f64 v[187:188], v[179:180], v[11:12]
	;; [unrolled: 1-line block ×3, first 2 shown]
	v_fma_f64 v[39:40], v[39:40], s[4:5], v[1:2]
	v_add_f64 v[185:186], v[195:196], v[7:8]
	v_add_f64 v[9:10], v[37:38], -v[5:6]
	v_add_f64 v[5:6], v[179:180], -v[11:12]
	;; [unrolled: 1-line block ×4, first 2 shown]
	v_mul_u32_u24_e32 v17, 10, v125
	v_add_f64 v[1:2], v[177:178], -v[15:16]
	v_add_f64 v[37:38], v[181:182], -v[197:198]
	v_add_f64 v[15:16], v[21:22], -v[19:20]
	s_mov_b32 s4, 0xe8584caa
	v_lshl_add_u32 v17, v17, 4, 0
	s_mov_b32 s5, 0xbfebb67a
	s_mov_b32 s0, s4
	v_add_f64 v[193:194], v[25:26], v[39:40]
	v_add_f64 v[3:4], v[25:26], -v[39:40]
	ds_write_b128 v17, v[61:64]
	ds_write_b128 v17, v[65:68] offset:16
	ds_write_b128 v17, v[69:72] offset:32
	;; [unrolled: 1-line block ×29, first 2 shown]
	v_mul_lo_u16 v105, 0xcd, v126
	s_waitcnt lgkmcnt(0)
	s_barrier
	buffer_gl0_inv
	ds_read_b128 v[17:20], v203
	ds_read_b128 v[101:104], v203 offset:10240
	ds_read_b128 v[109:112], v203 offset:20480
	;; [unrolled: 1-line block ×29, first 2 shown]
	v_lshrrev_b16 v164, 11, v105
	v_mul_lo_u16 v126, 0x89, v126
	v_mul_lo_u16 v105, v164, 10
	v_lshrrev_b16 v126, 13, v126
	v_sub_nc_u16 v213, v125, v105
	v_mul_u32_u24_sdwa v105, v213, v129 dst_sel:DWORD dst_unused:UNUSED_PAD src0_sel:BYTE_0 src1_sel:DWORD
	v_lshlrev_b32_e32 v130, 4, v105
	s_clause 0x3
	global_load_dwordx4 v[181:184], v130, s[12:13] offset:48
	global_load_dwordx4 v[185:188], v130, s[12:13] offset:32
	;; [unrolled: 1-line block ×3, first 2 shown]
	global_load_dwordx4 v[117:120], v130, s[12:13]
	s_waitcnt vmcnt(0) lgkmcnt(28)
	v_mul_f64 v[105:106], v[103:104], v[119:120]
	v_fma_f64 v[107:108], v[101:102], v[117:118], v[105:106]
	v_mul_f64 v[101:102], v[101:102], v[119:120]
	v_fma_f64 v[105:106], v[103:104], v[117:118], -v[101:102]
	s_waitcnt lgkmcnt(27)
	v_mul_f64 v[101:102], v[111:112], v[191:192]
	v_fma_f64 v[117:118], v[109:110], v[189:190], v[101:102]
	v_mul_f64 v[101:102], v[109:110], v[191:192]
	v_fma_f64 v[119:120], v[111:112], v[189:190], -v[101:102]
	s_waitcnt lgkmcnt(26)
	;; [unrolled: 5-line block ×3, first 2 shown]
	v_mul_f64 v[101:102], v[175:176], v[183:184]
	v_fma_f64 v[195:196], v[173:174], v[181:182], v[101:102]
	v_mul_f64 v[101:102], v[173:174], v[183:184]
	v_fma_f64 v[197:198], v[175:176], v[181:182], -v[101:102]
	global_load_dwordx4 v[101:104], v130, s[12:13] offset:64
	v_mov_b32_e32 v130, 0xcccd
	s_waitcnt vmcnt(0) lgkmcnt(24)
	v_mul_f64 v[113:114], v[179:180], v[103:104]
	v_mul_f64 v[103:104], v[177:178], v[103:104]
	v_fma_f64 v[113:114], v[177:178], v[101:102], v[113:114]
	v_fma_f64 v[115:116], v[179:180], v[101:102], -v[103:104]
	v_mul_lo_u16 v101, 0xcd, v204
	v_lshrrev_b16 v211, 11, v101
	v_mul_lo_u16 v101, v211, 10
	v_sub_nc_u16 v212, v127, v101
	v_mul_u32_u24_sdwa v101, v212, v129 dst_sel:DWORD dst_unused:UNUSED_PAD src0_sel:BYTE_0 src1_sel:DWORD
	v_lshlrev_b32_e32 v103, 4, v101
	s_clause 0x3
	global_load_dwordx4 v[173:176], v103, s[12:13] offset:48
	global_load_dwordx4 v[177:180], v103, s[12:13] offset:32
	;; [unrolled: 1-line block ×3, first 2 shown]
	global_load_dwordx4 v[185:188], v103, s[12:13]
	s_waitcnt vmcnt(0) lgkmcnt(22)
	v_mul_f64 v[101:102], v[99:100], v[187:188]
	v_fma_f64 v[101:102], v[97:98], v[185:186], v[101:102]
	v_mul_f64 v[97:98], v[97:98], v[187:188]
	v_fma_f64 v[97:98], v[99:100], v[185:186], -v[97:98]
	s_waitcnt lgkmcnt(21)
	v_mul_f64 v[99:100], v[95:96], v[183:184]
	v_fma_f64 v[99:100], v[93:94], v[181:182], v[99:100]
	v_mul_f64 v[93:94], v[93:94], v[183:184]
	v_fma_f64 v[95:96], v[95:96], v[181:182], -v[93:94]
	s_waitcnt lgkmcnt(20)
	;; [unrolled: 5-line block ×3, first 2 shown]
	v_mul_f64 v[91:92], v[87:88], v[175:176]
	v_fma_f64 v[91:92], v[85:86], v[173:174], v[91:92]
	v_mul_f64 v[85:86], v[85:86], v[175:176]
	v_fma_f64 v[85:86], v[87:88], v[173:174], -v[85:86]
	global_load_dwordx4 v[173:176], v103, s[12:13] offset:64
	s_waitcnt vmcnt(0) lgkmcnt(18)
	v_mul_f64 v[87:88], v[83:84], v[175:176]
	v_fma_f64 v[87:88], v[81:82], v[173:174], v[87:88]
	v_mul_f64 v[81:82], v[81:82], v[175:176]
	v_fma_f64 v[103:104], v[83:84], v[173:174], -v[81:82]
	v_mul_u32_u24_sdwa v81, v172, v130 dst_sel:DWORD dst_unused:UNUSED_PAD src0_sel:WORD_0 src1_sel:DWORD
	v_lshrrev_b32_e32 v209, 19, v81
	v_mul_lo_u16 v81, v209, 10
	v_sub_nc_u16 v210, v172, v81
	v_mul_u32_u24_sdwa v81, v210, v129 dst_sel:DWORD dst_unused:UNUSED_PAD src0_sel:WORD_0 src1_sel:DWORD
	v_lshlrev_b32_e32 v131, 4, v81
	s_clause 0x3
	global_load_dwordx4 v[81:84], v131, s[12:13] offset:48
	global_load_dwordx4 v[183:186], v131, s[12:13] offset:32
	;; [unrolled: 1-line block ×3, first 2 shown]
	global_load_dwordx4 v[177:180], v131, s[12:13]
	s_waitcnt vmcnt(0) lgkmcnt(16)
	v_mul_f64 v[173:174], v[79:80], v[179:180]
	v_fma_f64 v[175:176], v[77:78], v[177:178], v[173:174]
	v_mul_f64 v[77:78], v[77:78], v[179:180]
	v_fma_f64 v[173:174], v[79:80], v[177:178], -v[77:78]
	s_waitcnt lgkmcnt(15)
	v_mul_f64 v[77:78], v[75:76], v[189:190]
	v_fma_f64 v[179:180], v[73:74], v[187:188], v[77:78]
	v_mul_f64 v[73:74], v[73:74], v[189:190]
	v_fma_f64 v[181:182], v[75:76], v[187:188], -v[73:74]
	s_waitcnt lgkmcnt(14)
	v_mul_f64 v[73:74], v[71:72], v[185:186]
	v_fma_f64 v[177:178], v[69:70], v[183:184], v[73:74]
	global_load_dwordx4 v[73:76], v131, s[12:13] offset:64
	v_mul_f64 v[69:70], v[69:70], v[185:186]
	v_fma_f64 v[69:70], v[71:72], v[183:184], -v[69:70]
	s_waitcnt lgkmcnt(13)
	v_mul_f64 v[71:72], v[67:68], v[83:84]
	v_fma_f64 v[71:72], v[65:66], v[81:82], v[71:72]
	v_mul_f64 v[65:66], v[65:66], v[83:84]
	v_fma_f64 v[67:68], v[67:68], v[81:82], -v[65:66]
	s_waitcnt vmcnt(0) lgkmcnt(12)
	v_mul_f64 v[65:66], v[63:64], v[75:76]
	v_fma_f64 v[65:66], v[61:62], v[73:74], v[65:66]
	v_mul_f64 v[61:62], v[61:62], v[75:76]
	v_fma_f64 v[61:62], v[63:64], v[73:74], -v[61:62]
	v_mul_u32_u24_sdwa v63, v151, v130 dst_sel:DWORD dst_unused:UNUSED_PAD src0_sel:WORD_0 src1_sel:DWORD
	v_lshrrev_b32_e32 v207, 19, v63
	v_mul_lo_u16 v63, v207, 10
	v_sub_nc_u16 v208, v151, v63
	v_mul_u32_u24_sdwa v63, v208, v129 dst_sel:DWORD dst_unused:UNUSED_PAD src0_sel:WORD_0 src1_sel:DWORD
	v_lshlrev_b32_e32 v131, 4, v63
	s_clause 0x3
	global_load_dwordx4 v[73:76], v131, s[12:13] offset:48
	global_load_dwordx4 v[77:80], v131, s[12:13] offset:32
	;; [unrolled: 1-line block ×3, first 2 shown]
	global_load_dwordx4 v[187:190], v131, s[12:13]
	s_waitcnt vmcnt(0) lgkmcnt(10)
	v_mul_f64 v[63:64], v[59:60], v[189:190]
	v_fma_f64 v[185:186], v[57:58], v[187:188], v[63:64]
	v_mul_f64 v[57:58], v[57:58], v[189:190]
	v_fma_f64 v[183:184], v[59:60], v[187:188], -v[57:58]
	s_waitcnt lgkmcnt(9)
	v_mul_f64 v[57:58], v[55:56], v[83:84]
	v_fma_f64 v[189:190], v[53:54], v[81:82], v[57:58]
	v_mul_f64 v[53:54], v[53:54], v[83:84]
	v_fma_f64 v[193:194], v[55:56], v[81:82], -v[53:54]
	s_waitcnt lgkmcnt(8)
	;; [unrolled: 5-line block ×3, first 2 shown]
	v_mul_f64 v[49:50], v[47:48], v[75:76]
	v_fma_f64 v[199:200], v[45:46], v[73:74], v[49:50]
	global_load_dwordx4 v[49:52], v131, s[12:13] offset:64
	v_mul_f64 v[45:46], v[45:46], v[75:76]
	v_fma_f64 v[45:46], v[47:48], v[73:74], -v[45:46]
	s_waitcnt vmcnt(0) lgkmcnt(6)
	v_mul_f64 v[47:48], v[43:44], v[51:52]
	v_fma_f64 v[47:48], v[41:42], v[49:50], v[47:48]
	v_mul_f64 v[41:42], v[41:42], v[51:52]
	v_fma_f64 v[41:42], v[43:44], v[49:50], -v[41:42]
	v_mul_u32_u24_sdwa v43, v165, v130 dst_sel:DWORD dst_unused:UNUSED_PAD src0_sel:WORD_0 src1_sel:DWORD
	v_lshrrev_b32_e32 v205, 19, v43
	v_mul_lo_u16 v43, v205, 10
	v_sub_nc_u16 v206, v165, v43
	v_mul_u32_u24_sdwa v43, v206, v129 dst_sel:DWORD dst_unused:UNUSED_PAD src0_sel:WORD_0 src1_sel:DWORD
	v_mov_b32_e32 v129, 0x3c0
	v_lshlrev_b32_e32 v63, 4, v43
	s_clause 0x3
	global_load_dwordx4 v[49:52], v63, s[12:13] offset:48
	global_load_dwordx4 v[53:56], v63, s[12:13] offset:32
	;; [unrolled: 1-line block ×3, first 2 shown]
	global_load_dwordx4 v[73:76], v63, s[12:13]
	v_mul_u32_u24_sdwa v130, v164, v129 dst_sel:DWORD dst_unused:UNUSED_PAD src0_sel:WORD_0 src1_sel:DWORD
	v_mov_b32_e32 v164, 4
	v_lshlrev_b32_sdwa v131, v164, v213 dst_sel:DWORD dst_unused:UNUSED_PAD src0_sel:DWORD src1_sel:BYTE_0
	v_add3_u32 v130, 0, v130, v131
	s_waitcnt vmcnt(0) lgkmcnt(4)
	v_mul_f64 v[43:44], v[39:40], v[75:76]
	v_fma_f64 v[214:215], v[37:38], v[73:74], v[43:44]
	v_mul_f64 v[37:38], v[37:38], v[75:76]
	v_add_f64 v[43:44], v[109:110], -v[113:114]
	v_fma_f64 v[201:202], v[39:40], v[73:74], -v[37:38]
	s_waitcnt lgkmcnt(3)
	v_mul_f64 v[37:38], v[35:36], v[59:60]
	v_add_f64 v[39:40], v[111:112], v[115:116]
	v_fma_f64 v[216:217], v[33:34], v[57:58], v[37:38]
	v_mul_f64 v[33:34], v[33:34], v[59:60]
	v_fma_f64 v[39:40], v[39:40], -0.5, v[105:106]
	v_fma_f64 v[218:219], v[35:36], v[57:58], -v[33:34]
	s_waitcnt lgkmcnt(2)
	v_mul_f64 v[33:34], v[31:32], v[55:56]
	v_add_f64 v[35:36], v[111:112], -v[115:116]
	v_fma_f64 v[220:221], v[29:30], v[53:54], v[33:34]
	v_mul_f64 v[29:30], v[29:30], v[55:56]
	v_add_f64 v[33:34], v[109:110], v[113:114]
	v_fma_f64 v[222:223], v[31:32], v[53:54], -v[29:30]
	s_waitcnt lgkmcnt(1)
	v_mul_f64 v[29:30], v[27:28], v[51:52]
	v_fma_f64 v[33:34], v[33:34], -0.5, v[107:108]
	v_fma_f64 v[224:225], v[25:26], v[49:50], v[29:30]
	v_mul_f64 v[25:26], v[25:26], v[51:52]
	v_fma_f64 v[37:38], v[35:36], s[4:5], v[33:34]
	v_fma_f64 v[33:34], v[35:36], s[0:1], v[33:34]
	v_add_f64 v[35:36], v[105:106], v[111:112]
	v_fma_f64 v[226:227], v[27:28], v[49:50], -v[25:26]
	global_load_dwordx4 v[25:28], v63, s[12:13] offset:64
	v_fma_f64 v[49:50], v[43:44], s[0:1], v[39:40]
	v_fma_f64 v[39:40], v[43:44], s[4:5], v[39:40]
	v_add_f64 v[35:36], v[35:36], v[115:116]
	s_waitcnt vmcnt(0) lgkmcnt(0)
	s_barrier
	buffer_gl0_inv
	v_mul_f64 v[43:44], v[49:50], s[4:5]
	v_mul_f64 v[51:52], v[39:40], s[4:5]
	v_mul_f64 v[39:40], v[39:40], -0.5
	v_mul_f64 v[49:50], v[49:50], 0.5
	v_fma_f64 v[43:44], v[37:38], 0.5, v[43:44]
	v_fma_f64 v[51:52], v[33:34], -0.5, v[51:52]
	v_fma_f64 v[33:34], v[33:34], s[0:1], v[39:40]
	v_fma_f64 v[37:38], v[37:38], s[0:1], v[49:50]
	v_mul_f64 v[29:30], v[23:24], v[27:28]
	v_fma_f64 v[228:229], v[21:22], v[25:26], v[29:30]
	v_mul_f64 v[21:22], v[21:22], v[27:28]
	v_add_f64 v[29:30], v[119:120], v[197:198]
	v_fma_f64 v[21:22], v[23:24], v[25:26], -v[21:22]
	v_add_f64 v[25:26], v[117:118], v[195:196]
	v_add_f64 v[23:24], v[17:18], v[117:118]
	v_fma_f64 v[17:18], v[25:26], -0.5, v[17:18]
	v_add_f64 v[25:26], v[119:120], -v[197:198]
	v_add_f64 v[23:24], v[23:24], v[195:196]
	v_fma_f64 v[27:28], v[25:26], s[4:5], v[17:18]
	v_fma_f64 v[17:18], v[25:26], s[0:1], v[17:18]
	v_add_f64 v[25:26], v[19:20], v[119:120]
	v_fma_f64 v[19:20], v[29:30], -0.5, v[19:20]
	v_add_f64 v[29:30], v[117:118], -v[195:196]
	v_add_f64 v[77:78], v[27:28], v[43:44]
	v_add_f64 v[81:82], v[17:18], v[51:52]
	;; [unrolled: 1-line block ×3, first 2 shown]
	v_fma_f64 v[31:32], v[29:30], s[0:1], v[19:20]
	v_fma_f64 v[19:20], v[29:30], s[4:5], v[19:20]
	v_add_f64 v[29:30], v[107:108], v[109:110]
	v_add_f64 v[109:110], v[17:18], -v[51:52]
	v_add_f64 v[17:18], v[13:14], v[99:100]
	v_add_f64 v[75:76], v[25:26], v[35:36]
	v_add_f64 v[119:120], v[25:26], -v[35:36]
	v_add_f64 v[35:36], v[89:90], v[103:104]
	v_add_f64 v[83:84], v[19:20], v[33:34]
	;; [unrolled: 1-line block ×3, first 2 shown]
	v_add_f64 v[111:112], v[19:20], -v[33:34]
	v_add_f64 v[19:20], v[99:100], v[91:92]
	v_add_f64 v[79:80], v[31:32], v[37:38]
	v_add_f64 v[115:116], v[31:32], -v[37:38]
	v_add_f64 v[25:26], v[95:96], v[85:86]
	v_add_f64 v[37:38], v[93:94], -v[87:88]
	v_add_f64 v[31:32], v[89:90], -v[103:104]
	;; [unrolled: 1-line block ×3, first 2 shown]
	v_add_f64 v[17:18], v[17:18], v[91:92]
	v_fma_f64 v[35:36], v[35:36], -0.5, v[97:98]
	v_add_f64 v[73:74], v[23:24], v[29:30]
	v_add_f64 v[117:118], v[23:24], -v[29:30]
	v_fma_f64 v[13:14], v[19:20], -0.5, v[13:14]
	v_add_f64 v[19:20], v[95:96], -v[85:86]
	v_add_f64 v[29:30], v[93:94], v[87:88]
	ds_write_b128 v130, v[73:76]
	ds_write_b128 v130, v[77:80] offset:160
	ds_write_b128 v130, v[81:84] offset:320
	;; [unrolled: 1-line block ×5, first 2 shown]
	v_fma_f64 v[39:40], v[37:38], s[0:1], v[35:36]
	v_fma_f64 v[35:36], v[37:38], s[4:5], v[35:36]
	;; [unrolled: 1-line block ×4, first 2 shown]
	v_add_f64 v[19:20], v[15:16], v[95:96]
	v_fma_f64 v[15:16], v[25:26], -0.5, v[15:16]
	v_add_f64 v[25:26], v[99:100], -v[91:92]
	v_fma_f64 v[29:30], v[29:30], -0.5, v[101:102]
	v_mul_u32_u24_sdwa v73, v211, v129 dst_sel:DWORD dst_unused:UNUSED_PAD src0_sel:WORD_0 src1_sel:DWORD
	v_lshlrev_b32_sdwa v74, v164, v212 dst_sel:DWORD dst_unused:UNUSED_PAD src0_sel:DWORD src1_sel:BYTE_0
	v_mul_lo_u16 v129, v126, 60
	v_add3_u32 v73, 0, v73, v74
	v_lshlrev_b32_sdwa v74, v164, v210 dst_sel:DWORD dst_unused:UNUSED_PAD src0_sel:DWORD src1_sel:WORD_0
	v_sub_nc_u16 v129, v125, v129
	v_mul_f64 v[37:38], v[39:40], s[4:5]
	v_mul_f64 v[43:44], v[35:36], s[4:5]
	v_mul_f64 v[35:36], v[35:36], -0.5
	v_mul_f64 v[39:40], v[39:40], 0.5
	v_add_f64 v[19:20], v[19:20], v[85:86]
	v_fma_f64 v[27:28], v[25:26], s[0:1], v[15:16]
	v_fma_f64 v[15:16], v[25:26], s[4:5], v[15:16]
	v_add_f64 v[25:26], v[101:102], v[93:94]
	v_fma_f64 v[33:34], v[31:32], s[4:5], v[29:30]
	v_fma_f64 v[29:30], v[31:32], s[0:1], v[29:30]
	v_add_f64 v[31:32], v[97:98], v[89:90]
	v_add_f64 v[25:26], v[25:26], v[87:88]
	v_fma_f64 v[37:38], v[33:34], 0.5, v[37:38]
	v_fma_f64 v[43:44], v[29:30], -0.5, v[43:44]
	v_add_f64 v[31:32], v[31:32], v[103:104]
	v_fma_f64 v[29:30], v[29:30], s[0:1], v[35:36]
	v_fma_f64 v[33:34], v[33:34], s[0:1], v[39:40]
	v_add_f64 v[105:106], v[17:18], v[25:26]
	v_add_f64 v[101:102], v[17:18], -v[25:26]
	v_add_f64 v[25:26], v[177:178], v[65:66]
	v_add_f64 v[107:108], v[19:20], v[31:32]
	;; [unrolled: 1-line block ×3, first 2 shown]
	v_add_f64 v[103:104], v[19:20], -v[31:32]
	v_add_f64 v[87:88], v[15:16], -v[29:30]
	v_add_f64 v[15:16], v[179:180], v[71:72]
	v_add_f64 v[31:32], v[69:70], v[61:62]
	;; [unrolled: 1-line block ×4, first 2 shown]
	v_add_f64 v[85:86], v[13:14], -v[43:44]
	v_add_f64 v[91:92], v[27:28], -v[33:34]
	v_add_f64 v[13:14], v[9:10], v[179:180]
	v_add_f64 v[19:20], v[181:182], v[67:68]
	v_add_f64 v[27:28], v[69:70], -v[61:62]
	v_add_f64 v[33:34], v[177:178], -v[65:66]
	v_add_f64 v[97:98], v[23:24], v[37:38]
	v_add_f64 v[89:90], v[23:24], -v[37:38]
	ds_write_b128 v73, v[105:108]
	ds_write_b128 v73, v[97:100] offset:160
	ds_write_b128 v73, v[93:96] offset:320
	;; [unrolled: 1-line block ×5, first 2 shown]
	v_fma_f64 v[9:10], v[15:16], -0.5, v[9:10]
	v_add_f64 v[15:16], v[181:182], -v[67:68]
	v_fma_f64 v[25:26], v[25:26], -0.5, v[175:176]
	v_fma_f64 v[31:32], v[31:32], -0.5, v[173:174]
	v_add_f64 v[13:14], v[13:14], v[71:72]
	v_mul_u32_u24_e32 v73, 0x3c0, v209
	v_add3_u32 v73, 0, v73, v74
	v_fma_f64 v[17:18], v[15:16], s[4:5], v[9:10]
	v_fma_f64 v[9:10], v[15:16], s[0:1], v[9:10]
	v_add_f64 v[15:16], v[11:12], v[181:182]
	v_fma_f64 v[11:12], v[19:20], -0.5, v[11:12]
	v_add_f64 v[19:20], v[179:180], -v[71:72]
	v_fma_f64 v[29:30], v[27:28], s[4:5], v[25:26]
	v_fma_f64 v[25:26], v[27:28], s[0:1], v[25:26]
	v_add_f64 v[27:28], v[173:174], v[69:70]
	v_fma_f64 v[35:36], v[33:34], s[0:1], v[31:32]
	v_fma_f64 v[31:32], v[33:34], s[4:5], v[31:32]
	v_add_f64 v[15:16], v[15:16], v[67:68]
	;; [unrolled: 3-line block ×3, first 2 shown]
	v_add_f64 v[27:28], v[27:28], v[61:62]
	v_mul_f64 v[33:34], v[35:36], s[4:5]
	v_mul_f64 v[35:36], v[35:36], 0.5
	v_mul_f64 v[37:38], v[31:32], s[4:5]
	v_mul_f64 v[31:32], v[31:32], -0.5
	v_add_f64 v[19:20], v[19:20], v[65:66]
	v_add_f64 v[71:72], v[15:16], v[27:28]
	v_fma_f64 v[33:34], v[29:30], 0.5, v[33:34]
	v_fma_f64 v[29:30], v[29:30], s[0:1], v[35:36]
	v_add_f64 v[67:68], v[15:16], -v[27:28]
	v_add_f64 v[27:28], v[191:192], v[41:42]
	v_fma_f64 v[37:38], v[25:26], -0.5, v[37:38]
	v_fma_f64 v[25:26], v[25:26], s[0:1], v[31:32]
	v_add_f64 v[15:16], v[193:194], v[45:46]
	v_add_f64 v[69:70], v[13:14], v[19:20]
	v_add_f64 v[65:66], v[13:14], -v[19:20]
	v_add_f64 v[19:20], v[187:188], v[47:48]
	v_add_f64 v[63:64], v[23:24], v[29:30]
	v_add_f64 v[55:56], v[23:24], -v[29:30]
	v_fma_f64 v[27:28], v[27:28], -0.5, v[183:184]
	v_add_f64 v[29:30], v[187:188], -v[47:48]
	v_add_f64 v[59:60], v[11:12], v[25:26]
	v_add_f64 v[51:52], v[11:12], -v[25:26]
	v_add_f64 v[11:12], v[189:190], v[199:200]
	;; [unrolled: 2-line block ×4, first 2 shown]
	v_add_f64 v[61:62], v[17:18], v[33:34]
	v_add_f64 v[53:54], v[17:18], -v[33:34]
	ds_write_b128 v73, v[69:72]
	ds_write_b128 v73, v[61:64] offset:160
	ds_write_b128 v73, v[57:60] offset:320
	ds_write_b128 v73, v[65:68] offset:480
	ds_write_b128 v73, v[53:56] offset:640
	ds_write_b128 v73, v[49:52] offset:800
	v_fma_f64 v[19:20], v[19:20], -0.5, v[185:186]
	v_fma_f64 v[31:32], v[29:30], s[0:1], v[27:28]
	v_fma_f64 v[5:6], v[11:12], -0.5, v[5:6]
	v_add_f64 v[11:12], v[193:194], -v[45:46]
	v_fma_f64 v[27:28], v[29:30], s[4:5], v[27:28]
	v_add_f64 v[9:10], v[9:10], v[199:200]
	v_mul_u32_u24_e32 v49, 0x3c0, v207
	v_lshlrev_b32_sdwa v50, v164, v208 dst_sel:DWORD dst_unused:UNUSED_PAD src0_sel:DWORD src1_sel:WORD_0
	v_add3_u32 v49, 0, v49, v50
	v_fma_f64 v[25:26], v[23:24], s[4:5], v[19:20]
	v_mul_f64 v[29:30], v[31:32], s[4:5]
	v_mul_f64 v[31:32], v[31:32], 0.5
	v_fma_f64 v[13:14], v[11:12], s[4:5], v[5:6]
	v_fma_f64 v[5:6], v[11:12], s[0:1], v[5:6]
	v_add_f64 v[11:12], v[7:8], v[193:194]
	v_fma_f64 v[7:8], v[15:16], -0.5, v[7:8]
	v_add_f64 v[15:16], v[189:190], -v[199:200]
	v_fma_f64 v[19:20], v[23:24], s[0:1], v[19:20]
	v_mul_f64 v[33:34], v[27:28], s[4:5]
	v_add_f64 v[23:24], v[183:184], v[191:192]
	v_fma_f64 v[29:30], v[25:26], 0.5, v[29:30]
	v_fma_f64 v[31:32], v[25:26], s[0:1], v[31:32]
	v_mul_f64 v[25:26], v[27:28], -0.5
	v_add_f64 v[11:12], v[11:12], v[45:46]
	v_fma_f64 v[17:18], v[15:16], s[0:1], v[7:8]
	v_fma_f64 v[7:8], v[15:16], s[4:5], v[7:8]
	v_add_f64 v[15:16], v[185:186], v[187:188]
	v_fma_f64 v[43:44], v[19:20], -0.5, v[33:34]
	v_add_f64 v[23:24], v[23:24], v[41:42]
	v_add_f64 v[37:38], v[13:14], v[29:30]
	v_add_f64 v[29:30], v[13:14], -v[29:30]
	v_fma_f64 v[19:20], v[19:20], s[0:1], v[25:26]
	v_add_f64 v[13:14], v[220:221], -v[228:229]
	v_add_f64 v[39:40], v[17:18], v[31:32]
	v_add_f64 v[31:32], v[17:18], -v[31:32]
	v_add_f64 v[15:16], v[15:16], v[47:48]
	v_add_f64 v[33:34], v[5:6], v[43:44]
	v_add_f64 v[25:26], v[5:6], -v[43:44]
	v_add_f64 v[5:6], v[1:2], v[216:217]
	v_add_f64 v[47:48], v[11:12], v[23:24]
	v_add_f64 v[43:44], v[11:12], -v[23:24]
	v_add_f64 v[11:12], v[222:223], -v[21:22]
	v_add_f64 v[35:36], v[7:8], v[19:20]
	v_add_f64 v[27:28], v[7:8], -v[19:20]
	v_add_f64 v[7:8], v[216:217], v[224:225]
	v_add_f64 v[45:46], v[9:10], v[15:16]
	v_add_f64 v[41:42], v[9:10], -v[15:16]
	v_add_f64 v[9:10], v[218:219], v[226:227]
	v_add_f64 v[5:6], v[5:6], v[224:225]
	ds_write_b128 v49, v[45:48]
	ds_write_b128 v49, v[37:40] offset:160
	ds_write_b128 v49, v[33:36] offset:320
	;; [unrolled: 1-line block ×5, first 2 shown]
	v_fma_f64 v[1:2], v[7:8], -0.5, v[1:2]
	v_add_f64 v[7:8], v[218:219], -v[226:227]
	v_mul_u32_u24_e32 v25, 0x3c0, v205
	v_lshlrev_b32_sdwa v26, v164, v206 dst_sel:DWORD dst_unused:UNUSED_PAD src0_sel:DWORD src1_sel:WORD_0
	v_add3_u32 v25, 0, v25, v26
	v_fma_f64 v[19:20], v[7:8], s[4:5], v[1:2]
	v_fma_f64 v[1:2], v[7:8], s[0:1], v[1:2]
	v_add_f64 v[7:8], v[3:4], v[218:219]
	v_fma_f64 v[3:4], v[9:10], -0.5, v[3:4]
	v_add_f64 v[9:10], v[216:217], -v[224:225]
	v_add_f64 v[7:8], v[7:8], v[226:227]
	v_fma_f64 v[173:174], v[9:10], s[0:1], v[3:4]
	v_fma_f64 v[3:4], v[9:10], s[4:5], v[3:4]
	v_add_f64 v[9:10], v[214:215], v[220:221]
	v_add_f64 v[17:18], v[9:10], v[228:229]
	;; [unrolled: 1-line block ×3, first 2 shown]
	v_fma_f64 v[9:10], v[9:10], -0.5, v[214:215]
	v_fma_f64 v[15:16], v[11:12], s[4:5], v[9:10]
	v_fma_f64 v[11:12], v[11:12], s[0:1], v[9:10]
	v_add_f64 v[9:10], v[201:202], v[222:223]
	v_add_f64 v[175:176], v[9:10], v[21:22]
	;; [unrolled: 1-line block ×4, first 2 shown]
	v_add_f64 v[17:18], v[5:6], -v[17:18]
	v_add_f64 v[23:24], v[7:8], v[175:176]
	v_fma_f64 v[9:10], v[9:10], -0.5, v[201:202]
	v_fma_f64 v[177:178], v[13:14], s[0:1], v[9:10]
	v_fma_f64 v[179:180], v[13:14], s[4:5], v[9:10]
	v_mul_f64 v[9:10], v[177:178], s[4:5]
	v_mul_f64 v[177:178], v[177:178], 0.5
	v_fma_f64 v[181:182], v[15:16], 0.5, v[9:10]
	v_mul_f64 v[9:10], v[179:180], s[4:5]
	v_mul_f64 v[179:180], v[179:180], -0.5
	v_fma_f64 v[177:178], v[15:16], s[0:1], v[177:178]
	v_add_f64 v[13:14], v[19:20], v[181:182]
	v_fma_f64 v[183:184], v[11:12], -0.5, v[9:10]
	v_fma_f64 v[179:180], v[11:12], s[0:1], v[179:180]
	v_add_f64 v[15:16], v[173:174], v[177:178]
	v_add_f64 v[5:6], v[19:20], -v[181:182]
	v_add_f64 v[19:20], v[7:8], -v[175:176]
	;; [unrolled: 1-line block ×3, first 2 shown]
	v_lshlrev_b32_sdwa v181, v164, v129 dst_sel:DWORD dst_unused:UNUSED_PAD src0_sel:DWORD src1_sel:BYTE_0
	v_mov_b32_e32 v129, 0x8889
	v_cmp_gt_u32_e64 s0, 0x78, v125
	v_add_f64 v[9:10], v[1:2], v[183:184]
	v_add_f64 v[11:12], v[3:4], v[179:180]
	v_add_f64 v[1:2], v[1:2], -v[183:184]
	v_add_f64 v[3:4], v[3:4], -v[179:180]
	ds_write_b128 v25, v[21:24]
	ds_write_b128 v25, v[13:16] offset:160
	ds_write_b128 v25, v[9:12] offset:320
	;; [unrolled: 1-line block ×5, first 2 shown]
	s_waitcnt lgkmcnt(0)
	s_barrier
	buffer_gl0_inv
	ds_read_b128 v[57:60], v203
	ds_read_b128 v[109:112], v203 offset:30720
	ds_read_b128 v[53:56], v203 offset:2048
	ds_read_b128 v[113:116], v203 offset:32768
	ds_read_b128 v[49:52], v203 offset:4096
	ds_read_b128 v[117:120], v203 offset:34816
	ds_read_b128 v[45:48], v203 offset:6144
	ds_read_b128 v[105:108], v203 offset:36864
	ds_read_b128 v[41:44], v203 offset:8192
	ds_read_b128 v[101:104], v203 offset:38912
	ds_read_b128 v[37:40], v203 offset:10240
	ds_read_b128 v[97:100], v203 offset:40960
	ds_read_b128 v[33:36], v203 offset:12288
	ds_read_b128 v[93:96], v203 offset:43008
	ds_read_b128 v[29:32], v152
	ds_read_b128 v[89:92], v203 offset:45056
	ds_read_b128 v[25:28], v203 offset:16384
	;; [unrolled: 1-line block ×15, first 2 shown]
	global_load_dwordx4 v[173:176], v181, s[12:13] offset:800
	v_mul_u32_u24_e32 v180, 0x445, v171
	v_mul_u32_u24_sdwa v179, v157, v129 dst_sel:DWORD dst_unused:UNUSED_PAD src0_sel:WORD_0 src1_sel:DWORD
	s_waitcnt vmcnt(0) lgkmcnt(28)
	v_mul_f64 v[177:178], v[111:112], v[175:176]
	v_fma_f64 v[182:183], v[109:110], v[173:174], v[177:178]
	v_mul_f64 v[109:110], v[109:110], v[175:176]
	v_add_f64 v[182:183], v[57:58], -v[182:183]
	v_fma_f64 v[184:185], v[111:112], v[173:174], -v[109:110]
	v_mul_lo_u16 v109, 0x89, v204
	v_lshrrev_b16 v111, 13, v109
	v_mul_lo_u16 v110, v111, 60
	v_sub_nc_u16 v110, v127, v110
	v_lshlrev_b32_sdwa v112, v164, v110 dst_sel:DWORD dst_unused:UNUSED_PAD src0_sel:DWORD src1_sel:BYTE_0
	v_mul_u32_u24_sdwa v110, v172, v129 dst_sel:DWORD dst_unused:UNUSED_PAD src0_sel:WORD_0 src1_sel:DWORD
	v_add_f64 v[184:185], v[59:60], -v[184:185]
	v_fma_f64 v[186:187], v[57:58], 2.0, -v[182:183]
	global_load_dwordx4 v[173:176], v112, s[12:13] offset:800
	v_fma_f64 v[188:189], v[59:60], 2.0, -v[184:185]
	s_waitcnt vmcnt(0) lgkmcnt(26)
	v_mul_f64 v[177:178], v[115:116], v[175:176]
	v_fma_f64 v[190:191], v[113:114], v[173:174], v[177:178]
	v_mul_f64 v[113:114], v[113:114], v[175:176]
	v_add_f64 v[190:191], v[53:54], -v[190:191]
	v_fma_f64 v[192:193], v[115:116], v[173:174], -v[113:114]
	v_lshrrev_b32_e32 v113, 21, v110
	v_mul_lo_u16 v114, v113, 60
	v_sub_nc_u16 v114, v172, v114
	v_lshlrev_b32_sdwa v114, v164, v114 dst_sel:DWORD dst_unused:UNUSED_PAD src0_sel:DWORD src1_sel:WORD_0
	global_load_dwordx4 v[173:176], v114, s[12:13] offset:800
	v_add_f64 v[192:193], v[55:56], -v[192:193]
	v_fma_f64 v[194:195], v[53:54], 2.0, -v[190:191]
	v_fma_f64 v[196:197], v[55:56], 2.0, -v[192:193]
	s_waitcnt vmcnt(0) lgkmcnt(24)
	v_mul_f64 v[115:116], v[119:120], v[175:176]
	v_fma_f64 v[198:199], v[117:118], v[173:174], v[115:116]
	v_mul_f64 v[115:116], v[117:118], v[175:176]
	v_mul_u32_u24_sdwa v118, v151, v129 dst_sel:DWORD dst_unused:UNUSED_PAD src0_sel:WORD_0 src1_sel:DWORD
	v_mul_u32_u24_sdwa v117, v165, v129 dst_sel:DWORD dst_unused:UNUSED_PAD src0_sel:WORD_0 src1_sel:DWORD
	v_add_f64 v[198:199], v[49:50], -v[198:199]
	v_fma_f64 v[200:201], v[119:120], v[173:174], -v[115:116]
	v_lshrrev_b32_e32 v119, 21, v118
	v_mul_lo_u16 v115, v119, 60
	v_sub_nc_u16 v115, v151, v115
	v_lshlrev_b32_sdwa v120, v164, v115 dst_sel:DWORD dst_unused:UNUSED_PAD src0_sel:DWORD src1_sel:WORD_0
	global_load_dwordx4 v[173:176], v120, s[12:13] offset:800
	v_add_f64 v[200:201], v[51:52], -v[200:201]
	v_fma_f64 v[204:205], v[49:50], 2.0, -v[198:199]
	v_fma_f64 v[206:207], v[51:52], 2.0, -v[200:201]
	s_waitcnt vmcnt(0) lgkmcnt(22)
	v_mul_f64 v[115:116], v[107:108], v[175:176]
	v_fma_f64 v[208:209], v[105:106], v[173:174], v[115:116]
	v_mul_f64 v[105:106], v[105:106], v[175:176]
	v_add_f64 v[208:209], v[45:46], -v[208:209]
	v_fma_f64 v[107:108], v[107:108], v[173:174], -v[105:106]
	v_lshrrev_b32_e32 v105, 21, v117
	v_mul_lo_u16 v106, v105, 60
	v_sub_nc_u16 v106, v165, v106
	v_lshlrev_b32_sdwa v106, v164, v106 dst_sel:DWORD dst_unused:UNUSED_PAD src0_sel:DWORD src1_sel:WORD_0
	global_load_dwordx4 v[173:176], v106, s[12:13] offset:800
	v_add_f64 v[210:211], v[47:48], -v[107:108]
	v_fma_f64 v[212:213], v[45:46], 2.0, -v[208:209]
	v_fma_f64 v[214:215], v[47:48], 2.0, -v[210:211]
	s_waitcnt vmcnt(0) lgkmcnt(20)
	v_mul_f64 v[115:116], v[103:104], v[175:176]
	v_fma_f64 v[216:217], v[101:102], v[173:174], v[115:116]
	v_mul_f64 v[101:102], v[101:102], v[175:176]
	v_mul_u32_u24_sdwa v116, v169, v129 dst_sel:DWORD dst_unused:UNUSED_PAD src0_sel:WORD_0 src1_sel:DWORD
	v_mul_u32_u24_sdwa v115, v170, v129 dst_sel:DWORD dst_unused:UNUSED_PAD src0_sel:WORD_0 src1_sel:DWORD
	v_add_f64 v[216:217], v[41:42], -v[216:217]
	v_fma_f64 v[103:104], v[103:104], v[173:174], -v[101:102]
	v_lshrrev_b32_e32 v101, 21, v116
	v_mul_lo_u16 v102, v101, 60
	v_sub_nc_u16 v102, v169, v102
	v_lshlrev_b32_sdwa v102, v164, v102 dst_sel:DWORD dst_unused:UNUSED_PAD src0_sel:DWORD src1_sel:WORD_0
	global_load_dwordx4 v[173:176], v102, s[12:13] offset:800
	v_add_f64 v[218:219], v[43:44], -v[103:104]
	v_fma_f64 v[220:221], v[41:42], 2.0, -v[216:217]
	v_fma_f64 v[222:223], v[43:44], 2.0, -v[218:219]
	s_waitcnt vmcnt(0) lgkmcnt(18)
	v_mul_f64 v[177:178], v[99:100], v[175:176]
	v_fma_f64 v[224:225], v[97:98], v[173:174], v[177:178]
	v_mul_f64 v[97:98], v[97:98], v[175:176]
	v_fma_f64 v[99:100], v[99:100], v[173:174], -v[97:98]
	v_lshrrev_b32_e32 v97, 21, v115
	v_mul_lo_u16 v98, v97, 60
	v_sub_nc_u16 v98, v170, v98
	v_lshlrev_b32_sdwa v98, v164, v98 dst_sel:DWORD dst_unused:UNUSED_PAD src0_sel:DWORD src1_sel:WORD_0
	global_load_dwordx4 v[173:176], v98, s[12:13] offset:800
	s_waitcnt vmcnt(0) lgkmcnt(16)
	v_mul_f64 v[177:178], v[95:96], v[175:176]
	v_fma_f64 v[226:227], v[93:94], v[173:174], v[177:178]
	v_mul_f64 v[93:94], v[93:94], v[175:176]
	v_mul_u32_u24_sdwa v178, v158, v129 dst_sel:DWORD dst_unused:UNUSED_PAD src0_sel:WORD_0 src1_sel:DWORD
	v_mul_u32_u24_sdwa v177, v159, v129 dst_sel:DWORD dst_unused:UNUSED_PAD src0_sel:WORD_0 src1_sel:DWORD
	v_fma_f64 v[228:229], v[95:96], v[173:174], -v[93:94]
	v_lshrrev_b32_e32 v93, 16, v180
	v_mul_lo_u16 v94, v93, 60
	v_sub_nc_u16 v94, v171, v94
	v_lshlrev_b32_sdwa v94, v164, v94 dst_sel:DWORD dst_unused:UNUSED_PAD src0_sel:DWORD src1_sel:WORD_0
	global_load_dwordx4 v[173:176], v94, s[12:13] offset:800
	s_waitcnt vmcnt(0) lgkmcnt(14)
	v_mul_f64 v[95:96], v[91:92], v[175:176]
	v_fma_f64 v[230:231], v[89:90], v[173:174], v[95:96]
	v_mul_f64 v[89:90], v[89:90], v[175:176]
	v_add_f64 v[57:58], v[29:30], -v[230:231]
	v_fma_f64 v[232:233], v[91:92], v[173:174], -v[89:90]
	v_lshrrev_b32_e32 v89, 21, v179
	v_mul_lo_u16 v90, v89, 60
	v_sub_nc_u16 v90, v157, v90
	v_lshlrev_b32_sdwa v90, v164, v90 dst_sel:DWORD dst_unused:UNUSED_PAD src0_sel:DWORD src1_sel:WORD_0
	global_load_dwordx4 v[173:176], v90, s[12:13] offset:800
	v_add_f64 v[59:60], v[31:32], -v[232:233]
	s_waitcnt vmcnt(0) lgkmcnt(12)
	v_mul_f64 v[91:92], v[87:88], v[175:176]
	v_fma_f64 v[234:235], v[85:86], v[173:174], v[91:92]
	v_mul_f64 v[85:86], v[85:86], v[175:176]
	v_add_f64 v[49:50], v[25:26], -v[234:235]
	v_fma_f64 v[236:237], v[87:88], v[173:174], -v[85:86]
	v_lshrrev_b32_e32 v85, 21, v178
	v_mul_lo_u16 v86, v85, 60
	v_sub_nc_u16 v86, v158, v86
	v_lshlrev_b32_sdwa v86, v164, v86 dst_sel:DWORD dst_unused:UNUSED_PAD src0_sel:DWORD src1_sel:WORD_0
	global_load_dwordx4 v[173:176], v86, s[12:13] offset:800
	v_add_f64 v[51:52], v[27:28], -v[236:237]
	v_fma_f64 v[53:54], v[25:26], 2.0, -v[49:50]
	v_fma_f64 v[55:56], v[27:28], 2.0, -v[51:52]
	s_waitcnt vmcnt(0) lgkmcnt(10)
	v_mul_f64 v[87:88], v[83:84], v[175:176]
	v_fma_f64 v[238:239], v[81:82], v[173:174], v[87:88]
	v_mul_f64 v[81:82], v[81:82], v[175:176]
	v_add_f64 v[41:42], v[21:22], -v[238:239]
	v_fma_f64 v[240:241], v[83:84], v[173:174], -v[81:82]
	v_lshrrev_b32_e32 v81, 21, v177
	v_mul_lo_u16 v82, v81, 60
	v_sub_nc_u16 v82, v159, v82
	v_lshlrev_b32_sdwa v82, v164, v82 dst_sel:DWORD dst_unused:UNUSED_PAD src0_sel:DWORD src1_sel:WORD_0
	global_load_dwordx4 v[173:176], v82, s[12:13] offset:800
	v_add_f64 v[43:44], v[23:24], -v[240:241]
	v_fma_f64 v[45:46], v[21:22], 2.0, -v[41:42]
	v_fma_f64 v[47:48], v[23:24], 2.0, -v[43:44]
	s_waitcnt vmcnt(0) lgkmcnt(8)
	v_mul_f64 v[83:84], v[79:80], v[175:176]
	v_fma_f64 v[242:243], v[77:78], v[173:174], v[83:84]
	v_mul_f64 v[77:78], v[77:78], v[175:176]
	v_mul_u32_u24_sdwa v176, v160, v129 dst_sel:DWORD dst_unused:UNUSED_PAD src0_sel:WORD_0 src1_sel:DWORD
	v_mul_u32_u24_sdwa v175, v161, v129 dst_sel:DWORD dst_unused:UNUSED_PAD src0_sel:WORD_0 src1_sel:DWORD
	v_lshrrev_b32_e32 v83, 21, v176
	v_fma_f64 v[244:245], v[79:80], v[173:174], -v[77:78]
	v_mul_lo_u16 v77, v83, 60
	v_mul_u32_u24_sdwa v174, v162, v129 dst_sel:DWORD dst_unused:UNUSED_PAD src0_sel:WORD_0 src1_sel:DWORD
	v_mul_u32_u24_sdwa v173, v163, v129 dst_sel:DWORD dst_unused:UNUSED_PAD src0_sel:WORD_0 src1_sel:DWORD
	v_sub_nc_u16 v77, v160, v77
	v_lshrrev_b32_e32 v91, 21, v174
	v_lshrrev_b32_e32 v95, 21, v173
	v_lshlrev_b32_sdwa v84, v164, v77 dst_sel:DWORD dst_unused:UNUSED_PAD src0_sel:DWORD src1_sel:WORD_0
	global_load_dwordx4 v[77:80], v84, s[12:13] offset:800
	s_waitcnt vmcnt(0) lgkmcnt(6)
	v_mul_f64 v[87:88], v[75:76], v[79:80]
	v_fma_f64 v[246:247], v[73:74], v[77:78], v[87:88]
	v_mul_f64 v[73:74], v[73:74], v[79:80]
	v_lshrrev_b32_e32 v87, 21, v175
	v_add_f64 v[25:26], v[13:14], -v[246:247]
	v_fma_f64 v[248:249], v[75:76], v[77:78], -v[73:74]
	v_mul_lo_u16 v73, v87, 60
	v_sub_nc_u16 v73, v161, v73
	v_lshlrev_b32_sdwa v88, v164, v73 dst_sel:DWORD dst_unused:UNUSED_PAD src0_sel:DWORD src1_sel:WORD_0
	global_load_dwordx4 v[73:76], v88, s[12:13] offset:800
	v_add_f64 v[27:28], v[15:16], -v[248:249]
	s_waitcnt vmcnt(0) lgkmcnt(4)
	v_mul_f64 v[77:78], v[71:72], v[75:76]
	v_fma_f64 v[250:251], v[69:70], v[73:74], v[77:78]
	v_mul_f64 v[69:70], v[69:70], v[75:76]
	v_add_f64 v[75:76], v[39:40], -v[99:100]
	v_mov_b32_e32 v99, 0x780
	v_mul_u32_u24_sdwa v100, v126, v99 dst_sel:DWORD dst_unused:UNUSED_PAD src0_sel:WORD_0 src1_sel:DWORD
	v_mul_u32_u24_sdwa v99, v111, v99 dst_sel:DWORD dst_unused:UNUSED_PAD src0_sel:WORD_0 src1_sel:DWORD
	v_mov_b32_e32 v126, v128
	v_add3_u32 v100, 0, v100, v181
	v_add3_u32 v99, 0, v99, v112
	v_fma_f64 v[252:253], v[71:72], v[73:74], -v[69:70]
	v_mul_lo_u16 v69, v91, 60
	v_fma_f64 v[79:80], v[39:40], 2.0, -v[75:76]
	v_sub_nc_u16 v69, v162, v69
	v_lshlrev_b32_sdwa v92, v164, v69 dst_sel:DWORD dst_unused:UNUSED_PAD src0_sel:DWORD src1_sel:WORD_0
	global_load_dwordx4 v[69:72], v92, s[12:13] offset:800
	s_waitcnt vmcnt(0) lgkmcnt(2)
	v_mul_f64 v[73:74], v[67:68], v[71:72]
	v_fma_f64 v[254:255], v[65:66], v[69:70], v[73:74]
	v_mul_f64 v[65:66], v[65:66], v[71:72]
	v_add_f64 v[73:74], v[37:38], -v[224:225]
	v_fma_f64 v[167:168], v[67:68], v[69:70], -v[65:66]
	v_mul_lo_u16 v65, v95, 60
	v_fma_f64 v[77:78], v[37:38], 2.0, -v[73:74]
	v_sub_nc_u16 v65, v163, v65
	v_lshlrev_b32_sdwa v96, v164, v65 dst_sel:DWORD dst_unused:UNUSED_PAD src0_sel:DWORD src1_sel:WORD_0
	global_load_dwordx4 v[65:68], v96, s[12:13] offset:800
	s_waitcnt vmcnt(0) lgkmcnt(0)
	s_barrier
	buffer_gl0_inv
	ds_write_b128 v100, v[186:189]
	ds_write_b128 v100, v[182:185] offset:960
	ds_write_b128 v99, v[194:197]
	ds_write_b128 v99, v[190:193] offset:960
	v_mul_u32_u24_e32 v99, 0x780, v113
	v_add3_u32 v99, 0, v99, v114
	ds_write_b128 v99, v[204:207]
	ds_write_b128 v99, v[198:201] offset:960
	v_mul_u32_u24_e32 v99, 0x780, v119
	v_add3_u32 v99, 0, v99, v120
	ds_write_b128 v99, v[212:215]
	ds_write_b128 v99, v[208:211] offset:960
	v_mul_u32_u24_e32 v99, 0x780, v105
	v_add_nc_u32_e32 v105, 0xffffff88, v125
	v_add3_u32 v99, 0, v99, v106
	ds_write_b128 v99, v[220:223]
	ds_write_b128 v99, v[216:219] offset:960
	v_mul_u32_u24_e32 v99, 0x780, v101
	v_cndmask_b32_e64 v105, v105, v125, s0
	v_mov_b32_e32 v106, v128
	v_add3_u32 v99, 0, v99, v102
	ds_write_b128 v99, v[77:80]
	ds_write_b128 v99, v[73:76] offset:960
	v_mul_u32_u24_e32 v73, 0x780, v97
	v_lshlrev_b64 v[106:107], 4, v[105:106]
	v_lshlrev_b32_e32 v105, 4, v105
	v_add3_u32 v73, 0, v73, v98
	v_add_co_u32 v106, s0, s12, v106
	v_add_co_ci_u32_e64 v107, s0, s13, v107, s0
	v_cmp_lt_u32_e64 s0, 0x77, v125
	v_mul_f64 v[69:70], v[63:64], v[67:68]
	v_fma_f64 v[129:130], v[61:62], v[65:66], v[69:70]
	v_mul_f64 v[61:62], v[61:62], v[67:68]
	v_add_f64 v[67:68], v[35:36], -v[228:229]
	v_fma_f64 v[131:132], v[63:64], v[65:66], -v[61:62]
	v_add_f64 v[65:66], v[33:34], -v[226:227]
	v_fma_f64 v[71:72], v[35:36], 2.0, -v[67:68]
	v_add_f64 v[35:36], v[19:20], -v[244:245]
	v_fma_f64 v[61:62], v[29:30], 2.0, -v[57:58]
	v_fma_f64 v[63:64], v[31:32], 2.0, -v[59:60]
	;; [unrolled: 1-line block ×5, first 2 shown]
	v_add_f64 v[33:34], v[17:18], -v[242:243]
	v_fma_f64 v[39:40], v[19:20], 2.0, -v[35:36]
	v_add_f64 v[19:20], v[11:12], -v[252:253]
	ds_write_b128 v73, v[69:72]
	ds_write_b128 v73, v[65:68] offset:960
	v_fma_f64 v[37:38], v[17:18], 2.0, -v[33:34]
	v_add_f64 v[17:18], v[9:10], -v[250:251]
	v_mul_u32_u24_e32 v65, 0x780, v93
	v_fma_f64 v[23:24], v[11:12], 2.0, -v[19:20]
	v_add_f64 v[11:12], v[7:8], -v[167:168]
	v_add3_u32 v65, 0, v65, v94
	ds_write_b128 v65, v[61:64]
	ds_write_b128 v65, v[57:60] offset:960
	v_mul_u32_u24_e32 v57, 0x780, v89
	v_add3_u32 v57, 0, v57, v90
	ds_write_b128 v57, v[53:56]
	ds_write_b128 v57, v[49:52] offset:960
	v_fma_f64 v[21:22], v[9:10], 2.0, -v[17:18]
	v_add_f64 v[9:10], v[5:6], -v[254:255]
	v_mul_u32_u24_e32 v49, 0x780, v85
	v_fma_f64 v[15:16], v[7:8], 2.0, -v[11:12]
	v_add_f64 v[7:8], v[3:4], -v[131:132]
	v_add3_u32 v49, 0, v49, v86
	ds_write_b128 v49, v[45:48]
	ds_write_b128 v49, v[41:44] offset:960
	v_mul_u32_u24_e32 v41, 0x780, v81
	v_add3_u32 v41, 0, v41, v82
	ds_write_b128 v41, v[37:40]
	ds_write_b128 v41, v[33:36] offset:960
	v_fma_f64 v[13:14], v[5:6], 2.0, -v[9:10]
	v_add_f64 v[5:6], v[1:2], -v[129:130]
	v_mul_u32_u24_e32 v33, 0x780, v83
	v_fma_f64 v[3:4], v[3:4], 2.0, -v[7:8]
	v_add3_u32 v33, 0, v33, v84
	ds_write_b128 v33, v[29:32]
	ds_write_b128 v33, v[25:28] offset:960
	v_mul_u32_u24_e32 v25, 0x780, v87
	v_add3_u32 v25, 0, v25, v88
	ds_write_b128 v25, v[21:24]
	ds_write_b128 v25, v[17:20] offset:960
	v_fma_f64 v[1:2], v[1:2], 2.0, -v[5:6]
	v_mul_u32_u24_e32 v17, 0x780, v91
	v_add3_u32 v17, 0, v17, v92
	ds_write_b128 v17, v[13:16]
	ds_write_b128 v17, v[9:12] offset:960
	v_mul_u32_u24_e32 v9, 0x780, v95
	v_add3_u32 v9, 0, v9, v96
	ds_write_b128 v9, v[1:4]
	ds_write_b128 v9, v[5:8] offset:960
	s_waitcnt lgkmcnt(0)
	s_barrier
	buffer_gl0_inv
	ds_read_b128 v[57:60], v203
	ds_read_b128 v[111:114], v203 offset:30720
	ds_read_b128 v[53:56], v203 offset:2048
	;; [unrolled: 1-line block ×13, first 2 shown]
	ds_read_b128 v[29:32], v152
	ds_read_b128 v[89:92], v203 offset:45056
	ds_read_b128 v[25:28], v203 offset:16384
	;; [unrolled: 1-line block ×15, first 2 shown]
	global_load_dwordx4 v[193:196], v[106:107], off offset:1760
	s_waitcnt vmcnt(0) lgkmcnt(28)
	v_mul_f64 v[106:107], v[113:114], v[195:196]
	v_fma_f64 v[119:120], v[111:112], v[193:194], v[106:107]
	v_mul_f64 v[106:107], v[111:112], v[195:196]
	v_fma_f64 v[129:130], v[113:114], v[193:194], -v[106:107]
	v_lshrrev_b16 v106, 14, v109
	v_mul_lo_u16 v107, 0x78, v106
	v_sub_nc_u16 v107, v127, v107
	v_lshlrev_b32_sdwa v107, v164, v107 dst_sel:DWORD dst_unused:UNUSED_PAD src0_sel:DWORD src1_sel:BYTE_0
	global_load_dwordx4 v[111:114], v107, s[12:13] offset:1760
	s_waitcnt vmcnt(0) lgkmcnt(26)
	v_mul_f64 v[108:109], v[183:184], v[113:114]
	v_fma_f64 v[131:132], v[181:182], v[111:112], v[108:109]
	v_mul_f64 v[108:109], v[181:182], v[113:114]
	v_cndmask_b32_e64 v114, 0, 0xf00, s0
	v_add3_u32 v105, 0, v114, v105
	v_fma_f64 v[167:168], v[183:184], v[111:112], -v[108:109]
	v_lshrrev_b32_e32 v108, 22, v110
	v_mul_lo_u16 v109, 0x78, v108
	v_sub_nc_u16 v109, v172, v109
	v_lshlrev_b32_sdwa v109, v164, v109 dst_sel:DWORD dst_unused:UNUSED_PAD src0_sel:DWORD src1_sel:WORD_0
	global_load_dwordx4 v[110:113], v109, s[12:13] offset:1760
	s_waitcnt vmcnt(0) lgkmcnt(24)
	v_mul_f64 v[181:182], v[187:188], v[112:113]
	v_mul_f64 v[112:113], v[185:186], v[112:113]
	v_fma_f64 v[197:198], v[185:186], v[110:111], v[181:182]
	v_fma_f64 v[199:200], v[187:188], v[110:111], -v[112:113]
	v_lshrrev_b32_e32 v110, 22, v118
	v_mul_lo_u16 v111, 0x78, v110
	v_sub_nc_u16 v111, v151, v111
	v_lshlrev_b32_sdwa v111, v164, v111 dst_sel:DWORD dst_unused:UNUSED_PAD src0_sel:DWORD src1_sel:WORD_0
	global_load_dwordx4 v[181:184], v111, s[12:13] offset:1760
	v_add_f64 v[197:198], v[49:50], -v[197:198]
	v_add_f64 v[199:200], v[51:52], -v[199:200]
	v_fma_f64 v[204:205], v[49:50], 2.0, -v[197:198]
	v_fma_f64 v[206:207], v[51:52], 2.0, -v[199:200]
	s_waitcnt vmcnt(0) lgkmcnt(22)
	v_mul_f64 v[112:113], v[191:192], v[183:184]
	v_fma_f64 v[201:202], v[189:190], v[181:182], v[112:113]
	v_mul_f64 v[112:113], v[189:190], v[183:184]
	v_add_f64 v[189:190], v[53:54], -v[131:132]
	v_lshlrev_b64 v[131:132], 4, v[125:126]
	v_add_f64 v[208:209], v[45:46], -v[201:202]
	v_fma_f64 v[210:211], v[191:192], v[181:182], -v[112:113]
	v_lshrrev_b32_e32 v112, 22, v117
	v_add_f64 v[191:192], v[55:56], -v[167:168]
	v_fma_f64 v[193:194], v[53:54], 2.0, -v[189:190]
	v_add_co_u32 v167, s0, s12, v137
	v_mul_lo_u16 v113, 0x78, v112
	v_add_co_ci_u32_e64 v168, s0, s13, v138, s0
	v_sub_nc_u16 v113, v165, v113
	v_lshlrev_b32_sdwa v113, v164, v113 dst_sel:DWORD dst_unused:UNUSED_PAD src0_sel:DWORD src1_sel:WORD_0
	global_load_dwordx4 v[181:184], v113, s[12:13] offset:1760
	v_add_f64 v[210:211], v[47:48], -v[210:211]
	v_fma_f64 v[212:213], v[45:46], 2.0, -v[208:209]
	v_fma_f64 v[195:196], v[55:56], 2.0, -v[191:192]
	;; [unrolled: 1-line block ×3, first 2 shown]
	s_waitcnt vmcnt(0) lgkmcnt(20)
	v_mul_f64 v[185:186], v[103:104], v[183:184]
	v_fma_f64 v[216:217], v[101:102], v[181:182], v[185:186]
	v_mul_f64 v[101:102], v[101:102], v[183:184]
	v_fma_f64 v[218:219], v[103:104], v[181:182], -v[101:102]
	v_lshrrev_b32_e32 v101, 22, v116
	v_mul_lo_u16 v102, 0x78, v101
	v_sub_nc_u16 v102, v169, v102
	v_lshlrev_b32_sdwa v102, v164, v102 dst_sel:DWORD dst_unused:UNUSED_PAD src0_sel:DWORD src1_sel:WORD_0
	global_load_dwordx4 v[181:184], v102, s[12:13] offset:1760
	s_waitcnt vmcnt(0) lgkmcnt(18)
	v_mul_f64 v[103:104], v[99:100], v[183:184]
	v_fma_f64 v[220:221], v[97:98], v[181:182], v[103:104]
	v_mul_f64 v[97:98], v[97:98], v[183:184]
	v_lshrrev_b32_e32 v103, 22, v173
	v_fma_f64 v[222:223], v[99:100], v[181:182], -v[97:98]
	v_lshrrev_b32_e32 v97, 22, v115
	v_mul_lo_u16 v98, 0x78, v97
	v_sub_nc_u16 v98, v170, v98
	v_lshlrev_b32_sdwa v98, v164, v98 dst_sel:DWORD dst_unused:UNUSED_PAD src0_sel:DWORD src1_sel:WORD_0
	global_load_dwordx4 v[181:184], v98, s[12:13] offset:1760
	s_waitcnt vmcnt(0) lgkmcnt(16)
	v_mul_f64 v[99:100], v[95:96], v[183:184]
	v_fma_f64 v[224:225], v[93:94], v[181:182], v[99:100]
	v_mul_f64 v[93:94], v[93:94], v[183:184]
	v_lshrrev_b32_e32 v99, 22, v174
	;; [unrolled: 11-line block ×3, first 2 shown]
	v_fma_f64 v[230:231], v[91:92], v[181:182], -v[89:90]
	v_lshrrev_b32_e32 v89, 22, v179
	v_mul_lo_u16 v90, 0x78, v89
	v_sub_nc_u16 v90, v157, v90
	v_lshlrev_b32_sdwa v90, v164, v90 dst_sel:DWORD dst_unused:UNUSED_PAD src0_sel:DWORD src1_sel:WORD_0
	global_load_dwordx4 v[181:184], v90, s[12:13] offset:1760
	s_waitcnt vmcnt(0) lgkmcnt(12)
	v_mul_f64 v[91:92], v[87:88], v[183:184]
	v_fma_f64 v[232:233], v[85:86], v[181:182], v[91:92]
	v_mul_f64 v[85:86], v[85:86], v[183:184]
	v_add_f64 v[49:50], v[25:26], -v[232:233]
	v_fma_f64 v[234:235], v[87:88], v[181:182], -v[85:86]
	v_lshrrev_b32_e32 v85, 22, v178
	v_mul_lo_u16 v86, 0x78, v85
	v_sub_nc_u16 v86, v158, v86
	v_lshlrev_b32_sdwa v86, v164, v86 dst_sel:DWORD dst_unused:UNUSED_PAD src0_sel:DWORD src1_sel:WORD_0
	global_load_dwordx4 v[181:184], v86, s[12:13] offset:1760
	v_add_f64 v[51:52], v[27:28], -v[234:235]
	v_fma_f64 v[53:54], v[25:26], 2.0, -v[49:50]
	v_fma_f64 v[55:56], v[27:28], 2.0, -v[51:52]
	s_waitcnt vmcnt(0) lgkmcnt(10)
	v_mul_f64 v[87:88], v[83:84], v[183:184]
	v_fma_f64 v[236:237], v[81:82], v[181:182], v[87:88]
	v_mul_f64 v[81:82], v[81:82], v[183:184]
	v_lshrrev_b32_e32 v87, 22, v177
	v_add_f64 v[183:184], v[59:60], -v[129:130]
	v_fma_f64 v[238:239], v[83:84], v[181:182], -v[81:82]
	v_mul_lo_u16 v81, 0x78, v87
	v_add_f64 v[181:182], v[57:58], -v[119:120]
	v_fma_f64 v[187:188], v[59:60], 2.0, -v[183:184]
	v_add_f64 v[59:60], v[31:32], -v[230:231]
	v_sub_nc_u16 v81, v159, v81
	v_lshlrev_b32_sdwa v88, v164, v81 dst_sel:DWORD dst_unused:UNUSED_PAD src0_sel:DWORD src1_sel:WORD_0
	global_load_dwordx4 v[81:84], v88, s[12:13] offset:1760
	v_fma_f64 v[185:186], v[57:58], 2.0, -v[181:182]
	v_add_f64 v[57:58], v[29:30], -v[228:229]
	s_waitcnt vmcnt(0) lgkmcnt(8)
	v_mul_f64 v[91:92], v[79:80], v[83:84]
	v_fma_f64 v[240:241], v[77:78], v[81:82], v[91:92]
	v_mul_f64 v[77:78], v[77:78], v[83:84]
	v_lshrrev_b32_e32 v91, 22, v176
	v_add_f64 v[83:84], v[43:44], -v[218:219]
	v_fma_f64 v[242:243], v[79:80], v[81:82], -v[77:78]
	v_mul_lo_u16 v77, 0x78, v91
	v_fma_f64 v[218:219], v[43:44], 2.0, -v[83:84]
	v_add_f64 v[43:44], v[23:24], -v[238:239]
	v_sub_nc_u16 v77, v160, v77
	v_lshlrev_b32_sdwa v92, v164, v77 dst_sel:DWORD dst_unused:UNUSED_PAD src0_sel:DWORD src1_sel:WORD_0
	global_load_dwordx4 v[77:80], v92, s[12:13] offset:1760
	v_fma_f64 v[47:48], v[23:24], 2.0, -v[43:44]
	s_waitcnt vmcnt(0) lgkmcnt(6)
	v_mul_f64 v[81:82], v[75:76], v[79:80]
	v_fma_f64 v[244:245], v[73:74], v[77:78], v[81:82]
	v_mul_f64 v[73:74], v[73:74], v[79:80]
	v_add_f64 v[81:82], v[41:42], -v[216:217]
	v_add_f64 v[25:26], v[13:14], -v[244:245]
	v_fma_f64 v[246:247], v[75:76], v[77:78], -v[73:74]
	v_mul_lo_u16 v73, 0x78, v95
	v_fma_f64 v[216:217], v[41:42], 2.0, -v[81:82]
	v_add_f64 v[41:42], v[21:22], -v[236:237]
	v_sub_nc_u16 v73, v161, v73
	v_lshlrev_b32_sdwa v96, v164, v73 dst_sel:DWORD dst_unused:UNUSED_PAD src0_sel:DWORD src1_sel:WORD_0
	global_load_dwordx4 v[73:76], v96, s[12:13] offset:1760
	v_add_f64 v[27:28], v[15:16], -v[246:247]
	v_fma_f64 v[45:46], v[21:22], 2.0, -v[41:42]
	s_waitcnt vmcnt(0) lgkmcnt(4)
	v_mul_f64 v[77:78], v[71:72], v[75:76]
	v_fma_f64 v[248:249], v[69:70], v[73:74], v[77:78]
	v_mul_f64 v[69:70], v[69:70], v[75:76]
	v_add_f64 v[75:76], v[39:40], -v[222:223]
	v_fma_f64 v[250:251], v[71:72], v[73:74], -v[69:70]
	v_mul_lo_u16 v69, 0x78, v99
	v_fma_f64 v[79:80], v[39:40], 2.0, -v[75:76]
	v_sub_nc_u16 v69, v162, v69
	v_lshlrev_b32_sdwa v100, v164, v69 dst_sel:DWORD dst_unused:UNUSED_PAD src0_sel:DWORD src1_sel:WORD_0
	global_load_dwordx4 v[69:72], v100, s[12:13] offset:1760
	s_waitcnt vmcnt(0) lgkmcnt(2)
	v_mul_f64 v[73:74], v[67:68], v[71:72]
	v_fma_f64 v[252:253], v[65:66], v[69:70], v[73:74]
	v_mul_f64 v[65:66], v[65:66], v[71:72]
	v_add_f64 v[73:74], v[37:38], -v[220:221]
	v_fma_f64 v[254:255], v[67:68], v[69:70], -v[65:66]
	v_mul_lo_u16 v65, 0x78, v103
	v_fma_f64 v[77:78], v[37:38], 2.0, -v[73:74]
	v_sub_nc_u16 v65, v163, v65
	v_lshlrev_b32_sdwa v104, v164, v65 dst_sel:DWORD dst_unused:UNUSED_PAD src0_sel:DWORD src1_sel:WORD_0
	global_load_dwordx4 v[65:68], v104, s[12:13] offset:1760
	s_waitcnt vmcnt(0) lgkmcnt(0)
	s_barrier
	buffer_gl0_inv
	ds_write_b128 v105, v[185:188]
	ds_write_b128 v105, v[181:184] offset:1920
	v_mov_b32_e32 v105, 0xf00
	v_mul_u32_u24_sdwa v105, v106, v105 dst_sel:DWORD dst_unused:UNUSED_PAD src0_sel:WORD_0 src1_sel:DWORD
	v_add3_u32 v105, 0, v105, v107
	ds_write_b128 v105, v[193:196]
	ds_write_b128 v105, v[189:192] offset:1920
	v_mul_u32_u24_e32 v105, 0xf00, v108
	v_add3_u32 v105, 0, v105, v109
	ds_write_b128 v105, v[204:207]
	ds_write_b128 v105, v[197:200] offset:1920
	v_mul_u32_u24_e32 v105, 0xf00, v110
	;; [unrolled: 4-line block ×4, first 2 shown]
	v_add_co_u32 v113, s0, 0x800, v167
	v_add_co_ci_u32_e64 v114, s0, 0, v168, s0
	v_add3_u32 v81, 0, v81, v102
	ds_write_b128 v81, v[77:80]
	ds_write_b128 v81, v[73:76] offset:1920
	v_mul_u32_u24_e32 v73, 0xf00, v97
	v_cmp_gt_u32_e64 s0, 0xf0, v127
	v_add3_u32 v73, 0, v73, v98
	v_mul_f64 v[69:70], v[63:64], v[67:68]
	v_fma_f64 v[133:134], v[61:62], v[65:66], v[69:70]
	v_mul_f64 v[61:62], v[61:62], v[67:68]
	v_add_f64 v[67:68], v[35:36], -v[226:227]
	v_fma_f64 v[135:136], v[63:64], v[65:66], -v[61:62]
	v_add_f64 v[65:66], v[33:34], -v[224:225]
	v_fma_f64 v[71:72], v[35:36], 2.0, -v[67:68]
	v_add_f64 v[35:36], v[19:20], -v[242:243]
	v_fma_f64 v[61:62], v[29:30], 2.0, -v[57:58]
	v_fma_f64 v[63:64], v[31:32], 2.0, -v[59:60]
	;; [unrolled: 1-line block ×5, first 2 shown]
	v_add_f64 v[33:34], v[17:18], -v[240:241]
	v_fma_f64 v[39:40], v[19:20], 2.0, -v[35:36]
	v_add_f64 v[19:20], v[11:12], -v[250:251]
	ds_write_b128 v73, v[69:72]
	ds_write_b128 v73, v[65:68] offset:1920
	v_fma_f64 v[37:38], v[17:18], 2.0, -v[33:34]
	v_add_f64 v[17:18], v[9:10], -v[248:249]
	v_mul_u32_u24_e32 v65, 0xf00, v93
	v_fma_f64 v[23:24], v[11:12], 2.0, -v[19:20]
	v_add_f64 v[11:12], v[7:8], -v[254:255]
	v_add3_u32 v65, 0, v65, v94
	ds_write_b128 v65, v[61:64]
	ds_write_b128 v65, v[57:60] offset:1920
	v_mul_u32_u24_e32 v57, 0xf00, v89
	v_add3_u32 v57, 0, v57, v90
	ds_write_b128 v57, v[53:56]
	ds_write_b128 v57, v[49:52] offset:1920
	v_fma_f64 v[21:22], v[9:10], 2.0, -v[17:18]
	v_add_f64 v[9:10], v[5:6], -v[252:253]
	v_mul_u32_u24_e32 v49, 0xf00, v85
	v_fma_f64 v[15:16], v[7:8], 2.0, -v[11:12]
	v_add_f64 v[7:8], v[3:4], -v[135:136]
	v_add3_u32 v49, 0, v49, v86
	ds_write_b128 v49, v[45:48]
	ds_write_b128 v49, v[41:44] offset:1920
	v_mul_u32_u24_e32 v41, 0xf00, v87
	v_add3_u32 v41, 0, v41, v88
	ds_write_b128 v41, v[37:40]
	ds_write_b128 v41, v[33:36] offset:1920
	v_fma_f64 v[13:14], v[5:6], 2.0, -v[9:10]
	v_add_f64 v[5:6], v[1:2], -v[133:134]
	v_mul_u32_u24_e32 v33, 0xf00, v91
	v_fma_f64 v[3:4], v[3:4], 2.0, -v[7:8]
	v_add3_u32 v33, 0, v33, v92
	ds_write_b128 v33, v[29:32]
	ds_write_b128 v33, v[25:28] offset:1920
	v_mul_u32_u24_e32 v25, 0xf00, v95
	v_add3_u32 v25, 0, v25, v96
	ds_write_b128 v25, v[21:24]
	ds_write_b128 v25, v[17:20] offset:1920
	v_fma_f64 v[1:2], v[1:2], 2.0, -v[5:6]
	v_mul_u32_u24_e32 v17, 0xf00, v99
	v_add3_u32 v17, 0, v17, v100
	ds_write_b128 v17, v[13:16]
	ds_write_b128 v17, v[9:12] offset:1920
	v_mul_u32_u24_e32 v9, 0xf00, v103
	v_add3_u32 v9, 0, v9, v104
	ds_write_b128 v9, v[1:4]
	ds_write_b128 v9, v[5:8] offset:1920
	s_waitcnt lgkmcnt(0)
	s_barrier
	buffer_gl0_inv
	ds_read_b128 v[57:60], v203
	ds_read_b128 v[109:112], v203 offset:30720
	ds_read_b128 v[53:56], v203 offset:2048
	;; [unrolled: 1-line block ×13, first 2 shown]
	ds_read_b128 v[29:32], v152
	ds_read_b128 v[89:92], v203 offset:45056
	ds_read_b128 v[25:28], v203 offset:16384
	;; [unrolled: 1-line block ×15, first 2 shown]
	global_load_dwordx4 v[189:192], v[113:114], off offset:1632
	s_waitcnt vmcnt(0) lgkmcnt(28)
	v_mul_f64 v[113:114], v[111:112], v[191:192]
	v_fma_f64 v[113:114], v[109:110], v[189:190], v[113:114]
	v_mul_f64 v[109:110], v[109:110], v[191:192]
	v_add_f64 v[113:114], v[57:58], -v[113:114]
	v_fma_f64 v[111:112], v[111:112], v[189:190], -v[109:110]
	v_add_nc_u32_e32 v109, 0xffffff90, v125
	v_mov_b32_e32 v110, v128
	v_cndmask_b32_e64 v109, v109, v127, s0
	v_lshlrev_b64 v[119:120], 4, v[109:110]
	v_add_co_u32 v110, s0, s12, v119
	v_add_co_ci_u32_e64 v120, s0, s13, v120, s0
	v_add_co_u32 v119, s0, 0x800, v110
	v_add_co_ci_u32_e64 v120, s0, 0, v120, s0
	;; [unrolled: 2-line block ×3, first 2 shown]
	global_load_dwordx4 v[189:192], v[119:120], off offset:1632
	v_add_co_u32 v131, s0, 0x800, v126
	v_add_co_ci_u32_e64 v132, s0, 0, v172, s0
	v_lshrrev_b32_e32 v110, 23, v118
	v_mul_lo_u16 v118, 0xf0, v110
	v_sub_nc_u16 v118, v151, v118
	v_lshlrev_b32_sdwa v118, v164, v118 dst_sel:DWORD dst_unused:UNUSED_PAD src0_sel:DWORD src1_sel:WORD_0
	v_add_co_u32 v135, s0, s12, v118
	v_add_co_ci_u32_e64 v136, null, s13, 0, s0
	v_add_co_u32 v135, s0, 0x800, v135
	v_add_co_ci_u32_e64 v136, s0, 0, v136, s0
	s_waitcnt vmcnt(0) lgkmcnt(26)
	v_mul_f64 v[119:120], v[183:184], v[191:192]
	v_mul_f64 v[129:130], v[181:182], v[191:192]
	v_fma_f64 v[119:120], v[181:182], v[189:190], v[119:120]
	v_fma_f64 v[129:130], v[183:184], v[189:190], -v[129:130]
	global_load_dwordx4 v[181:184], v[131:132], off offset:1888
	s_waitcnt vmcnt(0) lgkmcnt(24)
	v_mul_f64 v[131:132], v[187:188], v[183:184]
	v_mul_f64 v[133:134], v[185:186], v[183:184]
	v_fma_f64 v[131:132], v[185:186], v[181:182], v[131:132]
	v_fma_f64 v[133:134], v[187:188], v[181:182], -v[133:134]
	global_load_dwordx4 v[181:184], v[135:136], off offset:1632
	v_add_f64 v[185:186], v[53:54], -v[119:120]
	v_add_f64 v[187:188], v[55:56], -v[129:130]
	;; [unrolled: 1-line block ×4, first 2 shown]
	v_fma_f64 v[189:190], v[53:54], 2.0, -v[185:186]
	v_fma_f64 v[191:192], v[55:56], 2.0, -v[187:188]
	;; [unrolled: 1-line block ×4, first 2 shown]
	s_waitcnt vmcnt(0) lgkmcnt(22)
	v_mul_f64 v[135:136], v[107:108], v[183:184]
	v_fma_f64 v[135:136], v[105:106], v[181:182], v[135:136]
	v_mul_f64 v[105:106], v[105:106], v[183:184]
	v_add_f64 v[204:205], v[45:46], -v[135:136]
	v_fma_f64 v[106:107], v[107:108], v[181:182], -v[105:106]
	v_lshrrev_b32_e32 v105, 23, v117
	v_mul_lo_u16 v105, 0xf0, v105
	v_sub_nc_u16 v105, v165, v105
	v_lshlrev_b32_sdwa v105, v164, v105 dst_sel:DWORD dst_unused:UNUSED_PAD src0_sel:DWORD src1_sel:WORD_0
	v_add_co_u32 v108, s0, s12, v105
	v_add_co_ci_u32_e64 v117, null, s13, 0, s0
	v_add_f64 v[206:207], v[47:48], -v[106:107]
	v_add_co_u32 v137, s0, 0x800, v108
	v_add_co_ci_u32_e64 v138, s0, 0, v117, s0
	v_fma_f64 v[208:209], v[45:46], 2.0, -v[204:205]
	global_load_dwordx4 v[181:184], v[137:138], off offset:1632
	v_fma_f64 v[210:211], v[47:48], 2.0, -v[206:207]
	s_waitcnt vmcnt(0) lgkmcnt(20)
	v_mul_f64 v[137:138], v[103:104], v[183:184]
	v_fma_f64 v[137:138], v[101:102], v[181:182], v[137:138]
	v_mul_f64 v[101:102], v[101:102], v[183:184]
	v_add_f64 v[212:213], v[41:42], -v[137:138]
	v_fma_f64 v[103:104], v[103:104], v[181:182], -v[101:102]
	v_lshrrev_b32_e32 v101, 23, v116
	v_mul_lo_u16 v102, 0xf0, v101
	v_sub_nc_u16 v102, v169, v102
	v_lshlrev_b32_sdwa v102, v164, v102 dst_sel:DWORD dst_unused:UNUSED_PAD src0_sel:DWORD src1_sel:WORD_0
	v_add_co_u32 v108, s0, s12, v102
	v_add_co_ci_u32_e64 v117, null, s13, 0, s0
	v_add_f64 v[214:215], v[43:44], -v[103:104]
	v_add_co_u32 v116, s0, 0x800, v108
	v_add_co_ci_u32_e64 v117, s0, 0, v117, s0
	v_fma_f64 v[216:217], v[41:42], 2.0, -v[212:213]
	global_load_dwordx4 v[181:184], v[116:117], off offset:1632
	v_fma_f64 v[218:219], v[43:44], 2.0, -v[214:215]
	;; [unrolled: 18-line block ×4, first 2 shown]
	s_waitcnt vmcnt(0) lgkmcnt(14)
	v_mul_f64 v[115:116], v[91:92], v[183:184]
	v_fma_f64 v[236:237], v[89:90], v[181:182], v[115:116]
	v_mul_f64 v[89:90], v[89:90], v[183:184]
	v_fma_f64 v[90:91], v[91:92], v[181:182], -v[89:90]
	v_lshrrev_b32_e32 v89, 23, v179
	v_mul_lo_u16 v89, 0xf0, v89
	v_sub_nc_u16 v89, v157, v89
	v_lshlrev_b32_sdwa v89, v164, v89 dst_sel:DWORD dst_unused:UNUSED_PAD src0_sel:DWORD src1_sel:WORD_0
	v_add_co_u32 v92, s0, s12, v89
	v_add_co_ci_u32_e64 v100, null, s13, 0, s0
	v_add_co_u32 v115, s0, 0x800, v92
	v_add_co_ci_u32_e64 v116, s0, 0, v100, s0
	global_load_dwordx4 v[181:184], v[115:116], off offset:1632
	s_waitcnt vmcnt(0) lgkmcnt(12)
	v_mul_f64 v[115:116], v[87:88], v[183:184]
	v_fma_f64 v[238:239], v[85:86], v[181:182], v[115:116]
	v_mul_f64 v[85:86], v[85:86], v[183:184]
	v_add_f64 v[49:50], v[25:26], -v[238:239]
	v_fma_f64 v[87:88], v[87:88], v[181:182], -v[85:86]
	v_lshrrev_b32_e32 v85, 23, v178
	v_mul_lo_u16 v86, 0xf0, v85
	v_sub_nc_u16 v86, v158, v86
	v_lshlrev_b32_sdwa v86, v164, v86 dst_sel:DWORD dst_unused:UNUSED_PAD src0_sel:DWORD src1_sel:WORD_0
	v_add_co_u32 v92, s0, s12, v86
	v_add_co_ci_u32_e64 v100, null, s13, 0, s0
	v_add_f64 v[51:52], v[27:28], -v[87:88]
	v_add_co_u32 v115, s0, 0x800, v92
	v_add_co_ci_u32_e64 v116, s0, 0, v100, s0
	v_fma_f64 v[53:54], v[25:26], 2.0, -v[49:50]
	global_load_dwordx4 v[181:184], v[115:116], off offset:1632
	v_fma_f64 v[55:56], v[27:28], 2.0, -v[51:52]
	s_waitcnt vmcnt(0) lgkmcnt(10)
	v_mul_f64 v[115:116], v[83:84], v[183:184]
	v_fma_f64 v[240:241], v[81:82], v[181:182], v[115:116]
	v_mul_f64 v[81:82], v[81:82], v[183:184]
	v_add_f64 v[41:42], v[21:22], -v[240:241]
	v_fma_f64 v[82:83], v[83:84], v[181:182], -v[81:82]
	v_lshrrev_b32_e32 v81, 23, v177
	v_mul_lo_u16 v81, 0xf0, v81
	v_sub_nc_u16 v81, v159, v81
	v_lshlrev_b32_sdwa v81, v164, v81 dst_sel:DWORD dst_unused:UNUSED_PAD src0_sel:DWORD src1_sel:WORD_0
	v_add_co_u32 v84, s0, s12, v81
	v_add_co_ci_u32_e64 v92, null, s13, 0, s0
	v_add_f64 v[43:44], v[23:24], -v[82:83]
	v_add_co_u32 v115, s0, 0x800, v84
	v_add_co_ci_u32_e64 v116, s0, 0, v92, s0
	v_fma_f64 v[45:46], v[21:22], 2.0, -v[41:42]
	global_load_dwordx4 v[181:184], v[115:116], off offset:1632
	v_fma_f64 v[47:48], v[23:24], 2.0, -v[43:44]
	s_waitcnt vmcnt(0) lgkmcnt(8)
	v_mul_f64 v[115:116], v[79:80], v[183:184]
	v_fma_f64 v[242:243], v[77:78], v[181:182], v[115:116]
	v_mul_f64 v[77:78], v[77:78], v[183:184]
	v_add_f64 v[33:34], v[17:18], -v[242:243]
	v_fma_f64 v[79:80], v[79:80], v[181:182], -v[77:78]
	v_lshrrev_b32_e32 v77, 23, v176
	v_mul_lo_u16 v78, 0xf0, v77
	v_sub_nc_u16 v78, v160, v78
	v_lshlrev_b32_sdwa v78, v164, v78 dst_sel:DWORD dst_unused:UNUSED_PAD src0_sel:DWORD src1_sel:WORD_0
	v_add_co_u32 v84, s0, s12, v78
	v_add_co_ci_u32_e64 v92, null, s13, 0, s0
	v_add_f64 v[35:36], v[19:20], -v[79:80]
	v_add_co_u32 v115, s0, 0x800, v84
	v_add_co_ci_u32_e64 v116, s0, 0, v92, s0
	v_fma_f64 v[37:38], v[17:18], 2.0, -v[33:34]
	global_load_dwordx4 v[181:184], v[115:116], off offset:1632
	v_fma_f64 v[39:40], v[19:20], 2.0, -v[35:36]
	s_waitcnt vmcnt(0) lgkmcnt(6)
	v_mul_f64 v[115:116], v[75:76], v[183:184]
	v_fma_f64 v[244:245], v[73:74], v[181:182], v[115:116]
	v_mul_f64 v[73:74], v[73:74], v[183:184]
	v_add_f64 v[25:26], v[13:14], -v[244:245]
	v_fma_f64 v[74:75], v[75:76], v[181:182], -v[73:74]
	v_lshrrev_b32_e32 v73, 23, v175
	v_mul_lo_u16 v73, 0xf0, v73
	v_sub_nc_u16 v73, v161, v73
	v_lshlrev_b32_sdwa v73, v164, v73 dst_sel:DWORD dst_unused:UNUSED_PAD src0_sel:DWORD src1_sel:WORD_0
	v_add_co_u32 v76, s0, s12, v73
	v_add_co_ci_u32_e64 v84, null, s13, 0, s0
	v_add_f64 v[27:28], v[15:16], -v[74:75]
	v_add_co_u32 v115, s0, 0x800, v76
	v_add_co_ci_u32_e64 v116, s0, 0, v84, s0
	global_load_dwordx4 v[181:184], v[115:116], off offset:1632
	s_waitcnt vmcnt(0) lgkmcnt(4)
	v_mul_f64 v[115:116], v[71:72], v[183:184]
	v_fma_f64 v[246:247], v[69:70], v[181:182], v[115:116]
	v_mul_f64 v[69:70], v[69:70], v[183:184]
	v_add_f64 v[17:18], v[9:10], -v[246:247]
	v_fma_f64 v[71:72], v[71:72], v[181:182], -v[69:70]
	v_lshrrev_b32_e32 v69, 23, v174
	v_mul_lo_u16 v70, 0xf0, v69
	v_sub_nc_u16 v70, v162, v70
	v_lshlrev_b32_sdwa v70, v164, v70 dst_sel:DWORD dst_unused:UNUSED_PAD src0_sel:DWORD src1_sel:WORD_0
	v_add_co_u32 v76, s0, s12, v70
	v_add_co_ci_u32_e64 v84, null, s13, 0, s0
	v_add_f64 v[19:20], v[11:12], -v[71:72]
	v_add_co_u32 v115, s0, 0x800, v76
	v_add_co_ci_u32_e64 v116, s0, 0, v84, s0
	v_fma_f64 v[21:22], v[9:10], 2.0, -v[17:18]
	global_load_dwordx4 v[181:184], v[115:116], off offset:1632
	v_fma_f64 v[23:24], v[11:12], 2.0, -v[19:20]
	s_waitcnt vmcnt(0) lgkmcnt(2)
	v_mul_f64 v[115:116], v[67:68], v[183:184]
	v_fma_f64 v[248:249], v[65:66], v[181:182], v[115:116]
	v_mul_f64 v[65:66], v[65:66], v[183:184]
	v_add_f64 v[9:10], v[5:6], -v[248:249]
	v_fma_f64 v[66:67], v[67:68], v[181:182], -v[65:66]
	v_lshrrev_b32_e32 v65, 23, v173
	v_mul_lo_u16 v65, 0xf0, v65
	v_sub_nc_u16 v65, v163, v65
	v_lshlrev_b32_sdwa v65, v164, v65 dst_sel:DWORD dst_unused:UNUSED_PAD src0_sel:DWORD src1_sel:WORD_0
	v_add_co_u32 v68, s0, s12, v65
	v_add_co_ci_u32_e64 v76, null, s13, 0, s0
	v_add_f64 v[11:12], v[7:8], -v[66:67]
	v_add_co_u32 v115, s0, 0x800, v68
	v_add_co_ci_u32_e64 v116, s0, 0, v76, s0
	v_cmp_lt_u32_e64 s0, 0xef, v127
	v_lshlrev_b32_e32 v67, 4, v109
	v_add_nc_u32_e32 v127, 0xffffffa0, v125
	global_load_dwordx4 v[181:184], v[115:116], off offset:1632
	s_waitcnt vmcnt(0) lgkmcnt(0)
	v_cndmask_b32_e64 v66, 0, 0x1e00, s0
	s_barrier
	buffer_gl0_inv
	v_add_co_u32 v109, s0, 0x1800, v167
	v_add3_u32 v66, 0, v66, v67
	v_mul_f64 v[115:116], v[63:64], v[183:184]
	v_fma_f64 v[250:251], v[61:62], v[181:182], v[115:116]
	v_mul_f64 v[61:62], v[61:62], v[183:184]
	v_add_f64 v[115:116], v[59:60], -v[111:112]
	v_fma_f64 v[252:253], v[63:64], v[181:182], -v[61:62]
	v_fma_f64 v[181:182], v[57:58], 2.0, -v[113:114]
	v_fma_f64 v[183:184], v[59:60], 2.0, -v[115:116]
	v_add_f64 v[57:58], v[29:30], -v[236:237]
	v_add_f64 v[59:60], v[31:32], -v[90:91]
	ds_write_b128 v203, v[181:184]
	ds_write_b128 v203, v[113:116] offset:3840
	ds_write_b128 v66, v[189:192]
	ds_write_b128 v66, v[185:188] offset:3840
	ds_write_b128 v203, v[197:200] offset:7936
	;; [unrolled: 1-line block ×3, first 2 shown]
	v_mul_u32_u24_e32 v66, 0x1e00, v110
	v_fma_f64 v[61:62], v[29:30], 2.0, -v[57:58]
	v_fma_f64 v[63:64], v[31:32], 2.0, -v[59:60]
	;; [unrolled: 1-line block ×4, first 2 shown]
	v_add3_u32 v66, 0, v66, v118
	ds_write_b128 v66, v[208:211]
	ds_write_b128 v66, v[204:207] offset:3840
	v_add_nc_u32_e32 v66, 0, v105
	ds_write_b128 v66, v[216:219] offset:15360
	ds_write_b128 v66, v[212:215] offset:19200
	v_mul_u32_u24_e32 v66, 0x1e00, v101
	v_fma_f64 v[13:14], v[5:6], 2.0, -v[9:10]
	v_fma_f64 v[15:16], v[7:8], 2.0, -v[11:12]
	v_add_f64 v[5:6], v[1:2], -v[250:251]
	v_add_f64 v[7:8], v[3:4], -v[252:253]
	v_add3_u32 v66, 0, v66, v102
	ds_write_b128 v66, v[224:227]
	ds_write_b128 v66, v[220:223] offset:3840
	v_add_nc_u32_e32 v66, 0, v97
	ds_write_b128 v66, v[232:235] offset:23040
	ds_write_b128 v66, v[228:231] offset:26880
	v_mul_u32_u24_e32 v66, 0x1e00, v93
	v_add_co_ci_u32_e64 v110, s0, 0, v168, s0
	v_add_co_u32 v153, s0, s12, v153
	v_add3_u32 v66, 0, v66, v94
	ds_write_b128 v66, v[61:64]
	ds_write_b128 v66, v[57:60] offset:3840
	v_add_nc_u32_e32 v57, 0, v89
	ds_write_b128 v57, v[53:56] offset:30720
	ds_write_b128 v57, v[49:52] offset:34560
	v_mul_u32_u24_e32 v49, 0x1e00, v85
	v_fma_f64 v[1:2], v[1:2], 2.0, -v[5:6]
	v_fma_f64 v[3:4], v[3:4], 2.0, -v[7:8]
	v_add_co_ci_u32_e64 v154, s0, s13, v154, s0
	v_add3_u32 v49, 0, v49, v86
	ds_write_b128 v49, v[45:48]
	ds_write_b128 v49, v[41:44] offset:3840
	v_add_nc_u32_e32 v41, 0, v81
	ds_write_b128 v41, v[37:40] offset:38400
	ds_write_b128 v41, v[33:36] offset:42240
	v_mul_u32_u24_e32 v33, 0x1e00, v77
	v_add3_u32 v33, 0, v33, v78
	ds_write_b128 v33, v[29:32]
	ds_write_b128 v33, v[25:28] offset:3840
	v_add_nc_u32_e32 v25, 0, v73
	ds_write_b128 v25, v[21:24] offset:46080
	ds_write_b128 v25, v[17:20] offset:49920
	v_mul_u32_u24_e32 v17, 0x1e00, v69
	v_add3_u32 v17, 0, v17, v70
	ds_write_b128 v17, v[13:16]
	ds_write_b128 v17, v[9:12] offset:3840
	v_add_nc_u32_e32 v9, 0, v65
	ds_write_b128 v9, v[1:4] offset:53760
	ds_write_b128 v9, v[5:8] offset:57600
	s_waitcnt lgkmcnt(0)
	s_barrier
	buffer_gl0_inv
	ds_read_b128 v[57:60], v203
	ds_read_b128 v[113:116], v203 offset:30720
	ds_read_b128 v[53:56], v203 offset:2048
	ds_read_b128 v[181:184], v203 offset:32768
	ds_read_b128 v[49:52], v203 offset:4096
	ds_read_b128 v[185:188], v203 offset:34816
	ds_read_b128 v[45:48], v203 offset:6144
	ds_read_b128 v[105:108], v203 offset:36864
	ds_read_b128 v[41:44], v203 offset:8192
	ds_read_b128 v[101:104], v203 offset:38912
	ds_read_b128 v[37:40], v203 offset:10240
	ds_read_b128 v[97:100], v203 offset:40960
	ds_read_b128 v[33:36], v203 offset:12288
	ds_read_b128 v[93:96], v203 offset:43008
	ds_read_b128 v[29:32], v152
	ds_read_b128 v[89:92], v203 offset:45056
	ds_read_b128 v[25:28], v203 offset:16384
	;; [unrolled: 1-line block ×15, first 2 shown]
	global_load_dwordx4 v[117:120], v[109:110], off offset:1376
	s_waitcnt vmcnt(0) lgkmcnt(28)
	v_mul_f64 v[109:110], v[115:116], v[119:120]
	v_fma_f64 v[111:112], v[113:114], v[117:118], v[109:110]
	v_mul_f64 v[109:110], v[113:114], v[119:120]
	v_add_co_u32 v113, s0, 0x1800, v153
	v_add_co_ci_u32_e64 v114, s0, 0, v154, s0
	v_add_co_u32 v155, s0, s12, v155
	v_add_co_ci_u32_e64 v156, s0, s13, v156, s0
	v_fma_f64 v[109:110], v[115:116], v[117:118], -v[109:110]
	global_load_dwordx4 v[113:116], v[113:114], off offset:1376
	s_waitcnt vmcnt(0) lgkmcnt(26)
	v_mul_f64 v[117:118], v[183:184], v[115:116]
	v_mul_f64 v[115:116], v[181:182], v[115:116]
	v_fma_f64 v[119:120], v[181:182], v[113:114], v[117:118]
	v_fma_f64 v[117:118], v[183:184], v[113:114], -v[115:116]
	v_add_co_u32 v113, s0, 0x1800, v155
	v_add_co_ci_u32_e64 v114, s0, 0, v156, s0
	v_cmp_gt_u32_e64 s0, 0x1e0, v151
	global_load_dwordx4 v[181:184], v[113:114], off offset:1376
	v_cndmask_b32_e64 v127, v127, v151, s0
	v_lshlrev_b64 v[129:130], 4, v[127:128]
	v_add_co_u32 v129, s0, s12, v129
	v_add_co_ci_u32_e64 v130, s0, s13, v130, s0
	v_add_co_u32 v129, s0, 0x1800, v129
	v_add_co_ci_u32_e64 v130, s0, 0, v130, s0
	s_waitcnt vmcnt(0) lgkmcnt(24)
	v_mul_f64 v[113:114], v[187:188], v[183:184]
	v_fma_f64 v[115:116], v[185:186], v[181:182], v[113:114]
	v_mul_f64 v[113:114], v[185:186], v[183:184]
	v_fma_f64 v[113:114], v[187:188], v[181:182], -v[113:114]
	global_load_dwordx4 v[181:184], v[129:130], off offset:1376
	s_waitcnt vmcnt(0) lgkmcnt(22)
	v_mul_f64 v[129:130], v[107:108], v[183:184]
	v_fma_f64 v[129:130], v[105:106], v[181:182], v[129:130]
	v_mul_f64 v[105:106], v[105:106], v[183:184]
	v_fma_f64 v[131:132], v[107:108], v[181:182], -v[105:106]
	v_add_co_u32 v105, s0, 0x1800, v126
	v_add_co_ci_u32_e64 v106, s0, 0, v172, s0
	global_load_dwordx4 v[105:108], v[105:106], off offset:1888
	s_waitcnt vmcnt(0) lgkmcnt(20)
	v_mul_f64 v[133:134], v[103:104], v[107:108]
	v_fma_f64 v[133:134], v[101:102], v[105:106], v[133:134]
	v_mul_f64 v[101:102], v[101:102], v[107:108]
	v_add_f64 v[107:108], v[41:42], -v[133:134]
	v_fma_f64 v[135:136], v[103:104], v[105:106], -v[101:102]
	v_add_co_u32 v101, s0, 0x2000, v126
	v_add_co_ci_u32_e64 v102, s0, 0, v172, s0
	global_load_dwordx4 v[101:104], v[101:102], off offset:1888
	v_fma_f64 v[41:42], v[41:42], 2.0, -v[107:108]
	s_waitcnt vmcnt(0) lgkmcnt(18)
	v_mul_f64 v[105:106], v[99:100], v[103:104]
	v_fma_f64 v[137:138], v[97:98], v[101:102], v[105:106]
	v_mul_f64 v[97:98], v[97:98], v[103:104]
	v_add_f64 v[103:104], v[45:46], -v[129:130]
	v_add_f64 v[105:106], v[47:48], -v[131:132]
	v_fma_f64 v[169:170], v[99:100], v[101:102], -v[97:98]
	v_add_co_u32 v97, s0, 0x2800, v126
	v_add_co_ci_u32_e64 v98, s0, 0, v172, s0
	v_fma_f64 v[45:46], v[45:46], 2.0, -v[103:104]
	v_fma_f64 v[47:48], v[47:48], 2.0, -v[105:106]
	global_load_dwordx4 v[97:100], v[97:98], off offset:1888
	s_waitcnt vmcnt(0) lgkmcnt(16)
	v_mul_f64 v[101:102], v[95:96], v[99:100]
	v_fma_f64 v[181:182], v[93:94], v[97:98], v[101:102]
	v_mul_f64 v[93:94], v[93:94], v[99:100]
	v_add_f64 v[101:102], v[51:52], -v[113:114]
	v_add_f64 v[113:114], v[39:40], -v[169:170]
	v_fma_f64 v[183:184], v[95:96], v[97:98], -v[93:94]
	v_lshrrev_b32_e32 v93, 19, v180
	v_fma_f64 v[51:52], v[51:52], 2.0, -v[101:102]
	v_fma_f64 v[39:40], v[39:40], 2.0, -v[113:114]
	v_mul_lo_u16 v94, 0x1e0, v93
	v_sub_nc_u16 v94, v171, v94
	v_lshlrev_b32_sdwa v94, v164, v94 dst_sel:DWORD dst_unused:UNUSED_PAD src0_sel:DWORD src1_sel:WORD_0
	v_add_co_u32 v95, s0, s12, v94
	v_add_co_ci_u32_e64 v96, null, s13, 0, s0
	v_add_co_u32 v95, s0, 0x1800, v95
	v_add_co_ci_u32_e64 v96, s0, 0, v96, s0
	global_load_dwordx4 v[95:98], v[95:96], off offset:1376
	s_waitcnt vmcnt(0) lgkmcnt(14)
	v_mul_f64 v[99:100], v[91:92], v[97:98]
	v_fma_f64 v[185:186], v[89:90], v[95:96], v[99:100]
	v_mul_f64 v[89:90], v[89:90], v[97:98]
	v_fma_f64 v[90:91], v[91:92], v[95:96], -v[89:90]
	v_lshrrev_b32_e32 v89, 24, v179
	v_mul_lo_u16 v89, 0x1e0, v89
	v_sub_nc_u16 v89, v157, v89
	v_lshlrev_b32_sdwa v89, v164, v89 dst_sel:DWORD dst_unused:UNUSED_PAD src0_sel:DWORD src1_sel:WORD_0
	v_add_co_u32 v92, s0, s12, v89
	v_add_co_ci_u32_e64 v96, null, s13, 0, s0
	v_add_co_u32 v95, s0, 0x1800, v92
	v_add_co_ci_u32_e64 v96, s0, 0, v96, s0
	global_load_dwordx4 v[95:98], v[95:96], off offset:1376
	s_waitcnt vmcnt(0) lgkmcnt(12)
	v_mul_f64 v[99:100], v[87:88], v[97:98]
	v_fma_f64 v[179:180], v[85:86], v[95:96], v[99:100]
	v_mul_f64 v[85:86], v[85:86], v[97:98]
	v_fma_f64 v[86:87], v[87:88], v[95:96], -v[85:86]
	v_lshrrev_b32_e32 v85, 24, v178
	v_mul_lo_u16 v85, 0x1e0, v85
	v_sub_nc_u16 v85, v158, v85
	v_add_f64 v[157:158], v[29:30], -v[185:186]
	v_lshlrev_b32_sdwa v85, v164, v85 dst_sel:DWORD dst_unused:UNUSED_PAD src0_sel:DWORD src1_sel:WORD_0
	v_add_co_u32 v88, s0, s12, v85
	v_add_co_ci_u32_e64 v92, null, s13, 0, s0
	v_add_co_u32 v95, s0, 0x1800, v88
	v_add_co_ci_u32_e64 v96, s0, 0, v92, s0
	global_load_dwordx4 v[95:98], v[95:96], off offset:1376
	s_waitcnt vmcnt(0) lgkmcnt(10)
	v_mul_f64 v[99:100], v[83:84], v[97:98]
	v_fma_f64 v[187:188], v[81:82], v[95:96], v[99:100]
	v_mul_f64 v[81:82], v[81:82], v[97:98]
	v_fma_f64 v[82:83], v[83:84], v[95:96], -v[81:82]
	v_lshrrev_b32_e32 v81, 24, v177
	v_mul_lo_u16 v81, 0x1e0, v81
	v_sub_nc_u16 v81, v159, v81
	v_lshlrev_b32_sdwa v81, v164, v81 dst_sel:DWORD dst_unused:UNUSED_PAD src0_sel:DWORD src1_sel:WORD_0
	v_add_co_u32 v84, s0, s12, v81
	v_add_co_ci_u32_e64 v88, null, s13, 0, s0
	v_add_co_u32 v95, s0, 0x1800, v84
	v_add_co_ci_u32_e64 v96, s0, 0, v88, s0
	global_load_dwordx4 v[95:98], v[95:96], off offset:1376
	s_waitcnt vmcnt(0) lgkmcnt(8)
	v_mul_f64 v[99:100], v[79:80], v[97:98]
	v_fma_f64 v[189:190], v[77:78], v[95:96], v[99:100]
	v_mul_f64 v[77:78], v[77:78], v[97:98]
	v_add_f64 v[189:190], v[17:18], -v[189:190]
	v_fma_f64 v[79:80], v[79:80], v[95:96], -v[77:78]
	v_lshrrev_b32_e32 v77, 24, v176
	v_mul_lo_u16 v78, 0x1e0, v77
	v_sub_nc_u16 v78, v160, v78
	v_add_f64 v[159:160], v[31:32], -v[90:91]
	v_lshlrev_b32_sdwa v78, v164, v78 dst_sel:DWORD dst_unused:UNUSED_PAD src0_sel:DWORD src1_sel:WORD_0
	v_add_co_u32 v84, s0, s12, v78
	v_add_co_ci_u32_e64 v88, null, s13, 0, s0
	v_add_f64 v[191:192], v[19:20], -v[79:80]
	v_add_co_u32 v95, s0, 0x1800, v84
	v_add_co_ci_u32_e64 v96, s0, 0, v88, s0
	v_fma_f64 v[193:194], v[17:18], 2.0, -v[189:190]
	global_load_dwordx4 v[95:98], v[95:96], off offset:1376
	v_fma_f64 v[195:196], v[19:20], 2.0, -v[191:192]
	s_waitcnt vmcnt(0) lgkmcnt(6)
	v_mul_f64 v[99:100], v[75:76], v[97:98]
	v_fma_f64 v[197:198], v[73:74], v[95:96], v[99:100]
	v_mul_f64 v[73:74], v[73:74], v[97:98]
	v_fma_f64 v[74:75], v[75:76], v[95:96], -v[73:74]
	v_lshrrev_b32_e32 v73, 24, v175
	v_add_f64 v[175:176], v[27:28], -v[86:87]
	v_mul_lo_u16 v73, 0x1e0, v73
	v_sub_nc_u16 v73, v161, v73
	v_lshlrev_b32_sdwa v73, v164, v73 dst_sel:DWORD dst_unused:UNUSED_PAD src0_sel:DWORD src1_sel:WORD_0
	v_add_co_u32 v76, s0, s12, v73
	v_add_co_ci_u32_e64 v84, null, s13, 0, s0
	v_add_co_u32 v95, s0, 0x1800, v76
	v_add_co_ci_u32_e64 v96, s0, 0, v84, s0
	global_load_dwordx4 v[95:98], v[95:96], off offset:1376
	s_waitcnt vmcnt(0) lgkmcnt(4)
	v_mul_f64 v[99:100], v[71:72], v[97:98]
	v_fma_f64 v[199:200], v[69:70], v[95:96], v[99:100]
	v_mul_f64 v[69:70], v[69:70], v[97:98]
	v_add_f64 v[17:18], v[9:10], -v[199:200]
	v_fma_f64 v[70:71], v[71:72], v[95:96], -v[69:70]
	v_lshrrev_b32_e32 v69, 24, v174
	v_mul_lo_u16 v69, 0x1e0, v69
	v_sub_nc_u16 v69, v162, v69
	v_fma_f64 v[161:162], v[29:30], 2.0, -v[157:158]
	v_lshlrev_b32_sdwa v69, v164, v69 dst_sel:DWORD dst_unused:UNUSED_PAD src0_sel:DWORD src1_sel:WORD_0
	v_add_co_u32 v72, s0, s12, v69
	v_add_co_ci_u32_e64 v76, null, s13, 0, s0
	v_add_f64 v[19:20], v[11:12], -v[70:71]
	v_add_co_u32 v95, s0, 0x1800, v72
	v_add_co_ci_u32_e64 v96, s0, 0, v76, s0
	global_load_dwordx4 v[95:98], v[95:96], off offset:1376
	s_waitcnt vmcnt(0) lgkmcnt(2)
	v_mul_f64 v[99:100], v[67:68], v[97:98]
	v_fma_f64 v[201:202], v[65:66], v[95:96], v[99:100]
	v_mul_f64 v[65:66], v[65:66], v[97:98]
	v_fma_f64 v[66:67], v[67:68], v[95:96], -v[65:66]
	v_lshrrev_b32_e32 v65, 24, v173
	v_add_f64 v[173:174], v[25:26], -v[179:180]
	v_fma_f64 v[179:180], v[27:28], 2.0, -v[175:176]
	v_add_f64 v[27:28], v[15:16], -v[74:75]
	v_mul_lo_u16 v65, 0x1e0, v65
	v_sub_nc_u16 v65, v163, v65
	v_lshlrev_b32_sdwa v65, v164, v65 dst_sel:DWORD dst_unused:UNUSED_PAD src0_sel:DWORD src1_sel:WORD_0
	v_fma_f64 v[163:164], v[31:32], 2.0, -v[159:160]
	v_add_co_u32 v68, s0, s12, v65
	v_add_co_ci_u32_e64 v72, null, s13, 0, s0
	v_fma_f64 v[177:178], v[25:26], 2.0, -v[173:174]
	v_add_co_u32 v95, s0, 0x1800, v68
	v_add_co_ci_u32_e64 v96, s0, 0, v72, s0
	v_add_f64 v[25:26], v[13:14], -v[197:198]
	v_cmp_lt_u32_e64 s0, 0x1df, v151
	v_fma_f64 v[31:32], v[15:16], 2.0, -v[27:28]
	global_load_dwordx4 v[95:98], v[95:96], off offset:1376
	s_waitcnt vmcnt(0) lgkmcnt(0)
	s_barrier
	buffer_gl0_inv
	v_fma_f64 v[29:30], v[13:14], 2.0, -v[25:26]
	v_mul_f64 v[99:100], v[63:64], v[97:98]
	v_fma_f64 v[204:205], v[61:62], v[95:96], v[99:100]
	v_mul_f64 v[61:62], v[61:62], v[97:98]
	v_add_f64 v[97:98], v[55:56], -v[117:118]
	v_add_f64 v[99:100], v[49:50], -v[115:116]
	;; [unrolled: 1-line block ×6, first 2 shown]
	v_fma_f64 v[206:207], v[63:64], v[95:96], -v[61:62]
	v_add_f64 v[61:62], v[57:58], -v[111:112]
	v_add_f64 v[63:64], v[59:60], -v[109:110]
	;; [unrolled: 1-line block ×5, first 2 shown]
	v_fma_f64 v[55:56], v[55:56], 2.0, -v[97:98]
	v_fma_f64 v[49:50], v[49:50], 2.0, -v[99:100]
	;; [unrolled: 1-line block ×8, first 2 shown]
	v_add_f64 v[9:10], v[5:6], -v[201:202]
	v_add_f64 v[11:12], v[7:8], -v[66:67]
	v_fma_f64 v[57:58], v[57:58], 2.0, -v[61:62]
	v_fma_f64 v[59:60], v[59:60], 2.0, -v[63:64]
	;; [unrolled: 1-line block ×5, first 2 shown]
	ds_write_b128 v203, v[57:60]
	ds_write_b128 v203, v[61:64] offset:7680
	ds_write_b128 v203, v[53:56] offset:2048
	;; [unrolled: 1-line block ×5, first 2 shown]
	v_cndmask_b32_e64 v49, 0, 0x3c00, s0
	v_lshlrev_b32_e32 v50, 4, v127
	v_fma_f64 v[13:14], v[5:6], 2.0, -v[9:10]
	v_fma_f64 v[15:16], v[7:8], 2.0, -v[11:12]
	v_add_f64 v[5:6], v[1:2], -v[204:205]
	v_add_f64 v[7:8], v[3:4], -v[206:207]
	v_add3_u32 v49, 0, v49, v50
	ds_write_b128 v49, v[45:48]
	ds_write_b128 v49, v[103:106] offset:7680
	ds_write_b128 v203, v[41:44] offset:15872
	ds_write_b128 v203, v[107:110] offset:23552
	ds_write_b128 v203, v[37:40] offset:17920
	ds_write_b128 v203, v[111:114] offset:25600
	ds_write_b128 v203, v[33:36] offset:19968
	ds_write_b128 v203, v[115:118] offset:27648
	v_mul_u32_u24_e32 v33, 0x3c00, v93
	v_add_co_u32 v129, s0, 0x3800, v167
	v_add_co_ci_u32_e64 v130, s0, 0, v168, s0
	v_add3_u32 v33, 0, v33, v94
	ds_write_b128 v33, v[161:164]
	ds_write_b128 v33, v[157:160] offset:7680
	v_add_nc_u32_e32 v33, 0, v89
	ds_write_b128 v33, v[177:180] offset:30720
	ds_write_b128 v33, v[173:176] offset:38400
	v_add_nc_u32_e32 v33, 0, v85
	ds_write_b128 v33, v[185:188] offset:30720
	ds_write_b128 v33, v[181:184] offset:38400
	v_add_nc_u32_e32 v33, 0, v81
	ds_write_b128 v33, v[193:196] offset:30720
	ds_write_b128 v33, v[189:192] offset:38400
	v_mul_u32_u24_e32 v33, 0x3c00, v77
	v_fma_f64 v[1:2], v[1:2], 2.0, -v[5:6]
	v_fma_f64 v[3:4], v[3:4], 2.0, -v[7:8]
	v_add3_u32 v33, 0, v33, v78
	ds_write_b128 v33, v[29:32]
	ds_write_b128 v33, v[25:28] offset:7680
	v_add_nc_u32_e32 v25, 0, v73
	ds_write_b128 v25, v[21:24] offset:46080
	ds_write_b128 v25, v[17:20] offset:53760
	v_add_nc_u32_e32 v17, 0, v69
	ds_write_b128 v17, v[13:16] offset:46080
	;; [unrolled: 3-line block ×3, first 2 shown]
	ds_write_b128 v9, v[5:8] offset:53760
	s_waitcnt lgkmcnt(0)
	s_barrier
	buffer_gl0_inv
	ds_read_b128 v[57:60], v203
	ds_read_b128 v[109:112], v203 offset:30720
	ds_read_b128 v[53:56], v203 offset:2048
	;; [unrolled: 1-line block ×13, first 2 shown]
	ds_read_b128 v[29:32], v152
	ds_read_b128 v[89:92], v203 offset:45056
	ds_read_b128 v[25:28], v203 offset:16384
	;; [unrolled: 1-line block ×15, first 2 shown]
	global_load_dwordx4 v[157:160], v[129:130], off offset:864
	s_waitcnt vmcnt(0) lgkmcnt(28)
	v_mul_f64 v[129:130], v[111:112], v[159:160]
	v_fma_f64 v[129:130], v[109:110], v[157:158], v[129:130]
	v_mul_f64 v[109:110], v[109:110], v[159:160]
	v_fma_f64 v[131:132], v[111:112], v[157:158], -v[109:110]
	v_add_co_u32 v109, s0, 0x3800, v153
	v_add_co_ci_u32_e64 v110, s0, 0, v154, s0
	global_load_dwordx4 v[109:112], v[109:110], off offset:864
	s_waitcnt vmcnt(0) lgkmcnt(26)
	v_mul_f64 v[133:134], v[115:116], v[111:112]
	v_mul_f64 v[111:112], v[113:114], v[111:112]
	v_fma_f64 v[133:134], v[113:114], v[109:110], v[133:134]
	v_fma_f64 v[135:136], v[115:116], v[109:110], -v[111:112]
	v_add_co_u32 v109, s0, 0x3800, v155
	v_add_co_ci_u32_e64 v110, s0, 0, v156, s0
	global_load_dwordx4 v[109:112], v[109:110], off offset:864
	s_waitcnt vmcnt(0) lgkmcnt(24)
	v_mul_f64 v[113:114], v[119:120], v[111:112]
	v_mul_f64 v[111:112], v[117:118], v[111:112]
	v_fma_f64 v[137:138], v[117:118], v[109:110], v[113:114]
	v_add_co_u32 v114, s0, s12, v143
	v_add_co_ci_u32_e64 v115, s0, s13, v144, s0
	v_fma_f64 v[116:117], v[119:120], v[109:110], -v[111:112]
	v_add_co_u32 v109, s0, 0x3800, v114
	v_add_co_ci_u32_e64 v110, s0, 0, v115, s0
	global_load_dwordx4 v[109:112], v[109:110], off offset:864
	s_waitcnt vmcnt(0) lgkmcnt(22)
	v_mul_f64 v[118:119], v[107:108], v[111:112]
	v_fma_f64 v[118:119], v[105:106], v[109:110], v[118:119]
	v_mul_f64 v[105:106], v[105:106], v[111:112]
	v_fma_f64 v[105:106], v[107:108], v[109:110], -v[105:106]
	v_add_co_u32 v108, s0, s12, v145
	v_add_co_ci_u32_e64 v109, s0, s13, v146, s0
	v_add_co_u32 v110, s0, 0x3800, v108
	v_add_co_ci_u32_e64 v111, s0, 0, v109, s0
	global_load_dwordx4 v[110:113], v[110:111], off offset:864
	s_waitcnt vmcnt(0) lgkmcnt(20)
	v_mul_f64 v[143:144], v[103:104], v[112:113]
	v_fma_f64 v[143:144], v[101:102], v[110:111], v[143:144]
	v_mul_f64 v[101:102], v[101:102], v[112:113]
	v_fma_f64 v[145:146], v[103:104], v[110:111], -v[101:102]
	v_add_co_u32 v110, s0, s12, v147
	v_add_co_ci_u32_e64 v111, s0, s13, v148, s0
	v_add_co_u32 v101, s0, 0x3800, v110
	v_add_co_ci_u32_e64 v102, s0, 0, v111, s0
	global_load_dwordx4 v[101:104], v[101:102], off offset:864
	s_waitcnt vmcnt(0) lgkmcnt(18)
	v_mul_f64 v[112:113], v[99:100], v[103:104]
	v_fma_f64 v[147:148], v[97:98], v[101:102], v[112:113]
	v_mul_f64 v[97:98], v[97:98], v[103:104]
	v_add_co_u32 v112, s0, s12, v149
	v_add_co_ci_u32_e64 v113, s0, s13, v150, s0
	v_fma_f64 v[101:102], v[99:100], v[101:102], -v[97:98]
	v_add_co_u32 v97, s0, 0x3800, v112
	v_add_co_ci_u32_e64 v98, s0, 0, v113, s0
	v_cmp_gt_u32_e64 s0, 0x3c0, v171
	global_load_dwordx4 v[97:100], v[97:98], off offset:864
	v_cndmask_b32_e64 v127, v0, v171, s0
	s_waitcnt vmcnt(0) lgkmcnt(16)
	v_mul_f64 v[103:104], v[95:96], v[99:100]
	v_fma_f64 v[103:104], v[93:94], v[97:98], v[103:104]
	v_mul_f64 v[93:94], v[93:94], v[99:100]
	v_fma_f64 v[97:98], v[95:96], v[97:98], -v[93:94]
	v_lshlrev_b64 v[93:94], 4, v[127:128]
	v_add_co_u32 v0, s0, s12, v93
	v_add_co_ci_u32_e64 v94, s0, s13, v94, s0
	v_add_co_u32 v93, s0, 0x3800, v0
	v_add_co_ci_u32_e64 v94, s0, 0, v94, s0
	global_load_dwordx4 v[93:96], v[93:94], off offset:864
	s_waitcnt vmcnt(0) lgkmcnt(14)
	v_mul_f64 v[99:100], v[91:92], v[95:96]
	v_fma_f64 v[99:100], v[89:90], v[93:94], v[99:100]
	v_mul_f64 v[89:90], v[89:90], v[95:96]
	v_fma_f64 v[93:94], v[91:92], v[93:94], -v[89:90]
	v_add_co_u32 v89, s0, 0x3800, v126
	v_add_co_ci_u32_e64 v90, s0, 0, v172, s0
	global_load_dwordx4 v[89:92], v[89:90], off offset:1888
	s_waitcnt vmcnt(0) lgkmcnt(12)
	v_mul_f64 v[95:96], v[87:88], v[91:92]
	v_fma_f64 v[95:96], v[85:86], v[89:90], v[95:96]
	v_mul_f64 v[85:86], v[85:86], v[91:92]
	v_add_f64 v[91:92], v[31:32], -v[93:94]
	v_add_f64 v[93:94], v[25:26], -v[95:96]
	v_fma_f64 v[149:150], v[87:88], v[89:90], -v[85:86]
	v_add_co_u32 v85, s0, 0x4000, v126
	v_add_co_ci_u32_e64 v86, s0, 0, v172, s0
	v_fma_f64 v[31:32], v[31:32], 2.0, -v[91:92]
	global_load_dwordx4 v[85:88], v[85:86], off offset:1888
	v_fma_f64 v[25:26], v[25:26], 2.0, -v[93:94]
	v_add_f64 v[95:96], v[27:28], -v[149:150]
	v_fma_f64 v[27:28], v[27:28], 2.0, -v[95:96]
	s_waitcnt vmcnt(0) lgkmcnt(10)
	v_mul_f64 v[89:90], v[83:84], v[87:88]
	v_fma_f64 v[157:158], v[81:82], v[85:86], v[89:90]
	v_mul_f64 v[81:82], v[81:82], v[87:88]
	v_add_f64 v[89:90], v[29:30], -v[99:100]
	v_add_f64 v[87:88], v[35:36], -v[97:98]
	;; [unrolled: 1-line block ×3, first 2 shown]
	v_fma_f64 v[159:160], v[83:84], v[85:86], -v[81:82]
	v_add_co_u32 v81, s0, 0x4800, v126
	v_add_co_ci_u32_e64 v82, s0, 0, v172, s0
	v_fma_f64 v[29:30], v[29:30], 2.0, -v[89:90]
	v_fma_f64 v[35:36], v[35:36], 2.0, -v[87:88]
	global_load_dwordx4 v[81:84], v[81:82], off offset:1888
	v_fma_f64 v[21:22], v[21:22], 2.0, -v[97:98]
	v_add_f64 v[99:100], v[23:24], -v[159:160]
	v_fma_f64 v[23:24], v[23:24], 2.0, -v[99:100]
	s_waitcnt vmcnt(0) lgkmcnt(8)
	v_mul_f64 v[85:86], v[79:80], v[83:84]
	v_fma_f64 v[161:162], v[77:78], v[81:82], v[85:86]
	v_mul_f64 v[77:78], v[77:78], v[83:84]
	v_add_f64 v[83:84], v[39:40], -v[101:102]
	v_add_f64 v[85:86], v[33:34], -v[103:104]
	;; [unrolled: 1-line block ×3, first 2 shown]
	v_fma_f64 v[163:164], v[79:80], v[81:82], -v[77:78]
	v_add_co_u32 v77, s0, 0x5000, v126
	v_add_co_ci_u32_e64 v78, s0, 0, v172, s0
	v_fma_f64 v[39:40], v[39:40], 2.0, -v[83:84]
	v_fma_f64 v[33:34], v[33:34], 2.0, -v[85:86]
	global_load_dwordx4 v[77:80], v[77:78], off offset:1888
	v_fma_f64 v[17:18], v[17:18], 2.0, -v[101:102]
	v_add_f64 v[103:104], v[19:20], -v[163:164]
	v_fma_f64 v[19:20], v[19:20], 2.0, -v[103:104]
	s_waitcnt vmcnt(0) lgkmcnt(6)
	v_mul_f64 v[81:82], v[75:76], v[79:80]
	v_fma_f64 v[169:170], v[73:74], v[77:78], v[81:82]
	v_mul_f64 v[73:74], v[73:74], v[79:80]
	v_add_f64 v[79:80], v[43:44], -v[145:146]
	v_add_f64 v[81:82], v[37:38], -v[147:148]
	v_fma_f64 v[173:174], v[75:76], v[77:78], -v[73:74]
	v_add_co_u32 v73, s0, 0x5800, v126
	v_add_co_ci_u32_e64 v74, s0, 0, v172, s0
	v_fma_f64 v[43:44], v[43:44], 2.0, -v[79:80]
	v_fma_f64 v[37:38], v[37:38], 2.0, -v[81:82]
	global_load_dwordx4 v[73:76], v[73:74], off offset:1888
	s_waitcnt vmcnt(0) lgkmcnt(4)
	v_mul_f64 v[77:78], v[71:72], v[75:76]
	v_fma_f64 v[175:176], v[69:70], v[73:74], v[77:78]
	v_mul_f64 v[69:70], v[69:70], v[75:76]
	v_add_f64 v[75:76], v[47:48], -v[105:106]
	v_add_f64 v[77:78], v[41:42], -v[143:144]
	;; [unrolled: 1-line block ×3, first 2 shown]
	v_fma_f64 v[177:178], v[71:72], v[73:74], -v[69:70]
	v_add_co_u32 v69, s0, 0x6000, v126
	v_add_co_ci_u32_e64 v70, s0, 0, v172, s0
	v_fma_f64 v[47:48], v[47:48], 2.0, -v[75:76]
	v_fma_f64 v[41:42], v[41:42], 2.0, -v[77:78]
	global_load_dwordx4 v[69:72], v[69:70], off offset:1888
	v_fma_f64 v[9:10], v[9:10], 2.0, -v[143:144]
	v_add_f64 v[145:146], v[11:12], -v[177:178]
	v_fma_f64 v[11:12], v[11:12], 2.0, -v[145:146]
	s_waitcnt vmcnt(0) lgkmcnt(2)
	v_mul_f64 v[73:74], v[67:68], v[71:72]
	v_fma_f64 v[179:180], v[65:66], v[69:70], v[73:74]
	v_mul_f64 v[65:66], v[65:66], v[71:72]
	v_add_f64 v[71:72], v[51:52], -v[116:117]
	v_add_f64 v[73:74], v[45:46], -v[118:119]
	;; [unrolled: 1-line block ×5, first 2 shown]
	v_fma_f64 v[181:182], v[67:68], v[69:70], -v[65:66]
	v_add_co_u32 v65, s0, 0x6800, v126
	v_add_co_ci_u32_e64 v66, s0, 0, v172, s0
	v_fma_f64 v[51:52], v[51:52], 2.0, -v[71:72]
	v_fma_f64 v[45:46], v[45:46], 2.0, -v[73:74]
	v_cmp_lt_u32_e64 s0, 0x3bf, v171
	global_load_dwordx4 v[65:68], v[65:66], off offset:1888
	v_fma_f64 v[13:14], v[13:14], 2.0, -v[116:117]
	v_fma_f64 v[15:16], v[15:16], 2.0, -v[118:119]
	s_waitcnt vmcnt(0) lgkmcnt(0)
	s_barrier
	buffer_gl0_inv
	v_fma_f64 v[5:6], v[5:6], 2.0, -v[147:148]
	v_add_f64 v[149:150], v[7:8], -v[181:182]
	v_fma_f64 v[7:8], v[7:8], 2.0, -v[149:150]
	v_mul_f64 v[69:70], v[63:64], v[67:68]
	v_fma_f64 v[183:184], v[61:62], v[65:66], v[69:70]
	v_mul_f64 v[61:62], v[61:62], v[67:68]
	v_add_f64 v[67:68], v[55:56], -v[135:136]
	v_add_f64 v[69:70], v[49:50], -v[137:138]
	;; [unrolled: 1-line block ×3, first 2 shown]
	v_fma_f64 v[185:186], v[63:64], v[65:66], -v[61:62]
	v_add_f64 v[61:62], v[57:58], -v[129:130]
	v_add_f64 v[63:64], v[59:60], -v[131:132]
	;; [unrolled: 1-line block ×3, first 2 shown]
	v_fma_f64 v[55:56], v[55:56], 2.0, -v[67:68]
	v_fma_f64 v[49:50], v[49:50], 2.0, -v[69:70]
	;; [unrolled: 1-line block ×3, first 2 shown]
	v_add_f64 v[159:160], v[3:4], -v[185:186]
	v_fma_f64 v[57:58], v[57:58], 2.0, -v[61:62]
	v_fma_f64 v[59:60], v[59:60], 2.0, -v[63:64]
	;; [unrolled: 1-line block ×3, first 2 shown]
	ds_write_b128 v203, v[57:60]
	ds_write_b128 v203, v[61:64] offset:15360
	ds_write_b128 v203, v[53:56] offset:2048
	;; [unrolled: 1-line block ×13, first 2 shown]
	v_fma_f64 v[2:3], v[3:4], 2.0, -v[159:160]
	v_cndmask_b32_e64 v4, 0, 0x7800, s0
	v_lshlrev_b32_e32 v33, 4, v127
	v_add_co_u32 v126, s0, 0x7000, v167
	v_add_co_ci_u32_e64 v127, s0, 0, v168, s0
	v_add3_u32 v4, 0, v4, v33
	ds_write_b128 v4, v[29:32]
	ds_write_b128 v4, v[89:92] offset:15360
	ds_write_b128 v203, v[25:28] offset:31744
	;; [unrolled: 1-line block ×15, first 2 shown]
	s_waitcnt lgkmcnt(0)
	s_barrier
	buffer_gl0_inv
	ds_read_b128 v[56:59], v203
	ds_read_b128 v[116:119], v203 offset:30720
	ds_read_b128 v[52:55], v203 offset:2048
	;; [unrolled: 1-line block ×13, first 2 shown]
	ds_read_b128 v[28:31], v152
	ds_read_b128 v[88:91], v203 offset:45056
	ds_read_b128 v[24:27], v203 offset:16384
	;; [unrolled: 1-line block ×15, first 2 shown]
	global_load_dwordx4 v[157:160], v[126:127], off offset:1888
	s_waitcnt vmcnt(0) lgkmcnt(28)
	v_mul_f64 v[126:127], v[118:119], v[159:160]
	v_fma_f64 v[126:127], v[116:117], v[157:158], v[126:127]
	v_mul_f64 v[116:117], v[116:117], v[159:160]
	v_fma_f64 v[129:130], v[118:119], v[157:158], -v[116:117]
	v_add_co_u32 v116, s0, 0x7000, v153
	v_add_co_ci_u32_e64 v117, s0, 0, v154, s0
	global_load_dwordx4 v[116:119], v[116:117], off offset:1888
	s_waitcnt vmcnt(0) lgkmcnt(26)
	v_mul_f64 v[131:132], v[145:146], v[118:119]
	v_mul_f64 v[118:119], v[143:144], v[118:119]
	v_fma_f64 v[131:132], v[143:144], v[116:117], v[131:132]
	v_fma_f64 v[133:134], v[145:146], v[116:117], -v[118:119]
	v_add_co_u32 v116, s0, 0x7000, v155
	v_add_co_ci_u32_e64 v117, s0, 0, v156, s0
	v_add_co_u32 v114, s0, 0x7000, v114
	v_add_co_ci_u32_e64 v115, s0, 0, v115, s0
	global_load_dwordx4 v[116:119], v[116:117], off offset:1888
	s_waitcnt vmcnt(0) lgkmcnt(24)
	v_mul_f64 v[135:136], v[149:150], v[118:119]
	v_mul_f64 v[118:119], v[147:148], v[118:119]
	v_fma_f64 v[135:136], v[147:148], v[116:117], v[135:136]
	v_fma_f64 v[118:119], v[149:150], v[116:117], -v[118:119]
	global_load_dwordx4 v[114:117], v[114:115], off offset:1888
	s_waitcnt vmcnt(0) lgkmcnt(22)
	v_mul_f64 v[137:138], v[106:107], v[116:117]
	v_fma_f64 v[137:138], v[104:105], v[114:115], v[137:138]
	v_mul_f64 v[104:105], v[104:105], v[116:117]
	v_fma_f64 v[114:115], v[106:107], v[114:115], -v[104:105]
	v_add_co_u32 v104, s0, 0x7000, v108
	v_add_co_ci_u32_e64 v105, s0, 0, v109, s0
	global_load_dwordx4 v[104:107], v[104:105], off offset:1888
	s_waitcnt vmcnt(0) lgkmcnt(20)
	v_mul_f64 v[108:109], v[102:103], v[106:107]
	v_fma_f64 v[108:109], v[100:101], v[104:105], v[108:109]
	v_mul_f64 v[100:101], v[100:101], v[106:107]
	v_fma_f64 v[104:105], v[102:103], v[104:105], -v[100:101]
	v_add_co_u32 v100, s0, 0x7000, v110
	v_add_co_ci_u32_e64 v101, s0, 0, v111, s0
	;; [unrolled: 8-line block ×3, first 2 shown]
	global_load_dwordx4 v[96:99], v[96:97], off offset:1888
	s_waitcnt vmcnt(0) lgkmcnt(16)
	v_mul_f64 v[102:103], v[94:95], v[98:99]
	v_fma_f64 v[102:103], v[92:93], v[96:97], v[102:103]
	v_mul_f64 v[92:93], v[92:93], v[98:99]
	v_fma_f64 v[96:97], v[94:95], v[96:97], -v[92:93]
	v_add_co_u32 v92, s0, s12, v166
	v_add_co_ci_u32_e64 v93, null, s13, 0, s0
	v_add_co_u32 v92, s0, 0x7000, v92
	v_add_co_ci_u32_e64 v93, s0, 0, v93, s0
	global_load_dwordx4 v[92:95], v[92:93], off offset:1888
	s_waitcnt vmcnt(0) lgkmcnt(14)
	v_mul_f64 v[98:99], v[90:91], v[94:95]
	v_fma_f64 v[98:99], v[88:89], v[92:93], v[98:99]
	v_mul_f64 v[88:89], v[88:89], v[94:95]
	v_fma_f64 v[92:93], v[90:91], v[92:93], -v[88:89]
	s_clause 0x1
	buffer_load_dword v88, off, s[28:31], 0
	buffer_load_dword v89, off, s[28:31], 0 offset:4
	s_waitcnt vmcnt(1)
	v_add_co_u32 v88, s0, s12, v88
	s_waitcnt vmcnt(0)
	v_add_co_ci_u32_e64 v89, s0, s13, v89, s0
	v_add_co_u32 v88, s0, 0x7000, v88
	v_add_co_ci_u32_e64 v89, s0, 0, v89, s0
	global_load_dwordx4 v[88:91], v[88:89], off offset:1888
	s_waitcnt vmcnt(0) lgkmcnt(12)
	v_mul_f64 v[94:95], v[86:87], v[90:91]
	v_fma_f64 v[94:95], v[84:85], v[88:89], v[94:95]
	v_mul_f64 v[84:85], v[84:85], v[90:91]
	v_add_f64 v[90:91], v[30:31], -v[92:93]
	v_add_f64 v[92:93], v[24:25], -v[94:95]
	v_fma_f64 v[110:111], v[86:87], v[88:89], -v[84:85]
	s_clause 0x1
	buffer_load_dword v84, off, s[28:31], 0 offset:8
	buffer_load_dword v85, off, s[28:31], 0 offset:12
	v_fma_f64 v[30:31], v[30:31], 2.0, -v[90:91]
	v_fma_f64 v[24:25], v[24:25], 2.0, -v[92:93]
	v_add_f64 v[94:95], v[26:27], -v[110:111]
	v_fma_f64 v[26:27], v[26:27], 2.0, -v[94:95]
	s_waitcnt vmcnt(1)
	v_add_co_u32 v84, s0, s12, v84
	s_waitcnt vmcnt(0)
	v_add_co_ci_u32_e64 v85, s0, s13, v85, s0
	v_add_co_u32 v84, s0, 0x7000, v84
	v_add_co_ci_u32_e64 v85, s0, 0, v85, s0
	global_load_dwordx4 v[84:87], v[84:85], off offset:1888
	s_waitcnt vmcnt(0) lgkmcnt(10)
	v_mul_f64 v[88:89], v[82:83], v[86:87]
	v_fma_f64 v[112:113], v[80:81], v[84:85], v[88:89]
	v_mul_f64 v[80:81], v[80:81], v[86:87]
	v_add_f64 v[86:87], v[34:35], -v[96:97]
	v_add_f64 v[88:89], v[28:29], -v[98:99]
	v_add_f64 v[96:97], v[20:21], -v[112:113]
	v_fma_f64 v[116:117], v[82:83], v[84:85], -v[80:81]
	s_clause 0x1
	buffer_load_dword v80, off, s[28:31], 0 offset:16
	buffer_load_dword v81, off, s[28:31], 0 offset:20
	v_fma_f64 v[34:35], v[34:35], 2.0, -v[86:87]
	v_fma_f64 v[28:29], v[28:29], 2.0, -v[88:89]
	v_fma_f64 v[20:21], v[20:21], 2.0, -v[96:97]
	v_add_f64 v[98:99], v[22:23], -v[116:117]
	v_fma_f64 v[22:23], v[22:23], 2.0, -v[98:99]
	s_waitcnt vmcnt(1)
	v_add_co_u32 v80, s0, s12, v80
	s_waitcnt vmcnt(0)
	v_add_co_ci_u32_e64 v81, s0, s13, v81, s0
	v_add_co_u32 v80, s0, 0x7000, v80
	v_add_co_ci_u32_e64 v81, s0, 0, v81, s0
	global_load_dwordx4 v[80:83], v[80:81], off offset:1888
	s_waitcnt vmcnt(0) lgkmcnt(8)
	v_mul_f64 v[84:85], v[78:79], v[82:83]
	v_fma_f64 v[143:144], v[76:77], v[80:81], v[84:85]
	v_mul_f64 v[76:77], v[76:77], v[82:83]
	v_add_f64 v[82:83], v[38:39], -v[100:101]
	v_add_f64 v[84:85], v[32:33], -v[102:103]
	v_add_f64 v[100:101], v[16:17], -v[143:144]
	v_fma_f64 v[145:146], v[78:79], v[80:81], -v[76:77]
	s_clause 0x1
	buffer_load_dword v76, off, s[28:31], 0 offset:24
	buffer_load_dword v77, off, s[28:31], 0 offset:28
	v_fma_f64 v[38:39], v[38:39], 2.0, -v[82:83]
	v_fma_f64 v[32:33], v[32:33], 2.0, -v[84:85]
	v_fma_f64 v[16:17], v[16:17], 2.0, -v[100:101]
	v_add_f64 v[102:103], v[18:19], -v[145:146]
	v_fma_f64 v[18:19], v[18:19], 2.0, -v[102:103]
	s_waitcnt vmcnt(1)
	v_add_co_u32 v76, s0, s12, v76
	s_waitcnt vmcnt(0)
	v_add_co_ci_u32_e64 v77, s0, s13, v77, s0
	v_add_co_u32 v76, s0, 0x7000, v76
	v_add_co_ci_u32_e64 v77, s0, 0, v77, s0
	global_load_dwordx4 v[76:79], v[76:77], off offset:1888
	s_waitcnt vmcnt(0) lgkmcnt(6)
	v_mul_f64 v[80:81], v[74:75], v[78:79]
	v_fma_f64 v[147:148], v[72:73], v[76:77], v[80:81]
	v_mul_f64 v[72:73], v[72:73], v[78:79]
	v_add_f64 v[78:79], v[42:43], -v[104:105]
	v_add_f64 v[80:81], v[36:37], -v[106:107]
	v_add_f64 v[104:105], v[12:13], -v[147:148]
	v_fma_f64 v[149:150], v[74:75], v[76:77], -v[72:73]
	s_clause 0x1
	buffer_load_dword v72, off, s[28:31], 0 offset:32
	buffer_load_dword v73, off, s[28:31], 0 offset:36
	v_fma_f64 v[42:43], v[42:43], 2.0, -v[78:79]
	v_fma_f64 v[36:37], v[36:37], 2.0, -v[80:81]
	v_fma_f64 v[12:13], v[12:13], 2.0, -v[104:105]
	v_add_f64 v[106:107], v[14:15], -v[149:150]
	v_fma_f64 v[14:15], v[14:15], 2.0, -v[106:107]
	s_waitcnt vmcnt(1)
	v_add_co_u32 v72, s0, s12, v72
	s_waitcnt vmcnt(0)
	v_add_co_ci_u32_e64 v73, s0, s13, v73, s0
	v_add_co_u32 v72, s0, 0x7000, v72
	v_add_co_ci_u32_e64 v73, s0, 0, v73, s0
	global_load_dwordx4 v[72:75], v[72:73], off offset:1888
	s_waitcnt vmcnt(0) lgkmcnt(4)
	v_mul_f64 v[76:77], v[70:71], v[74:75]
	v_fma_f64 v[153:154], v[68:69], v[72:73], v[76:77]
	v_mul_f64 v[68:69], v[68:69], v[74:75]
	v_add_f64 v[74:75], v[46:47], -v[114:115]
	v_add_f64 v[76:77], v[40:41], -v[108:109]
	;; [unrolled: 1-line block ×3, first 2 shown]
	v_fma_f64 v[155:156], v[70:71], v[72:73], -v[68:69]
	v_add_co_u32 v68, s0, s12, v139
	v_add_co_ci_u32_e64 v69, s0, s13, v140, s0
	v_fma_f64 v[46:47], v[46:47], 2.0, -v[74:75]
	v_add_co_u32 v68, s0, 0x7000, v68
	v_add_co_ci_u32_e64 v69, s0, 0, v69, s0
	v_fma_f64 v[40:41], v[40:41], 2.0, -v[76:77]
	global_load_dwordx4 v[68:71], v[68:69], off offset:1888
	v_fma_f64 v[8:9], v[8:9], 2.0, -v[108:109]
	v_add_f64 v[110:111], v[10:11], -v[155:156]
	v_fma_f64 v[10:11], v[10:11], 2.0, -v[110:111]
	s_waitcnt vmcnt(0) lgkmcnt(2)
	v_mul_f64 v[72:73], v[66:67], v[70:71]
	v_fma_f64 v[139:140], v[64:65], v[68:69], v[72:73]
	v_mul_f64 v[64:65], v[64:65], v[70:71]
	v_add_f64 v[70:71], v[50:51], -v[118:119]
	v_add_f64 v[72:73], v[44:45], -v[137:138]
	;; [unrolled: 1-line block ×3, first 2 shown]
	v_fma_f64 v[157:158], v[66:67], v[68:69], -v[64:65]
	v_add_co_u32 v64, s0, s12, v141
	v_add_co_ci_u32_e64 v65, s0, s13, v142, s0
	v_fma_f64 v[50:51], v[50:51], 2.0, -v[70:71]
	v_add_co_u32 v64, s0, 0x7000, v64
	v_add_co_ci_u32_e64 v65, s0, 0, v65, s0
	v_fma_f64 v[44:45], v[44:45], 2.0, -v[72:73]
	global_load_dwordx4 v[64:67], v[64:65], off offset:1888
	s_waitcnt vmcnt(0) lgkmcnt(0)
	s_barrier
	buffer_gl0_inv
	v_fma_f64 v[4:5], v[4:5], 2.0, -v[112:113]
	v_add_f64 v[114:115], v[6:7], -v[157:158]
	v_fma_f64 v[6:7], v[6:7], 2.0, -v[114:115]
	v_mul_f64 v[68:69], v[62:63], v[66:67]
	v_fma_f64 v[141:142], v[60:61], v[64:65], v[68:69]
	v_mul_f64 v[60:61], v[60:61], v[66:67]
	v_add_f64 v[66:67], v[54:55], -v[133:134]
	v_add_f64 v[68:69], v[48:49], -v[135:136]
	;; [unrolled: 1-line block ×3, first 2 shown]
	v_fma_f64 v[159:160], v[62:63], v[64:65], -v[60:61]
	v_add_f64 v[60:61], v[56:57], -v[126:127]
	v_add_f64 v[62:63], v[58:59], -v[129:130]
	;; [unrolled: 1-line block ×3, first 2 shown]
	v_fma_f64 v[54:55], v[54:55], 2.0, -v[66:67]
	v_fma_f64 v[48:49], v[48:49], 2.0, -v[68:69]
	;; [unrolled: 1-line block ×3, first 2 shown]
	v_add_f64 v[118:119], v[2:3], -v[159:160]
	v_fma_f64 v[56:57], v[56:57], 2.0, -v[60:61]
	v_fma_f64 v[58:59], v[58:59], 2.0, -v[62:63]
	v_fma_f64 v[52:53], v[52:53], 2.0, -v[64:65]
	v_fma_f64 v[2:3], v[2:3], 2.0, -v[118:119]
	ds_write_b128 v203, v[56:59]
	ds_write_b128 v203, v[60:63] offset:30720
	ds_write_b128 v203, v[52:55] offset:2048
	;; [unrolled: 1-line block ×13, first 2 shown]
	ds_write_b128 v152, v[28:31]
	ds_write_b128 v152, v[88:91] offset:30720
	ds_write_b128 v203, v[24:27] offset:16384
	;; [unrolled: 1-line block ×15, first 2 shown]
	s_waitcnt lgkmcnt(0)
	s_barrier
	buffer_gl0_inv
	s_and_saveexec_b32 s0, vcc_lo
	s_cbranch_execz .LBB0_21
; %bb.20:
	v_mul_lo_u32 v2, s3, v123
	v_mul_lo_u32 v3, s2, v124
	v_mad_u64_u32 v[0:1], null, s2, v123, 0
	v_lshl_add_u32 v26, v125, 4, 0
	v_mov_b32_e32 v126, v128
	v_lshlrev_b64 v[8:9], 4, v[121:122]
	v_add_nc_u32_e32 v127, 0x80, v125
	v_add3_u32 v1, v1, v3, v2
	v_lshlrev_b64 v[12:13], 4, v[125:126]
	v_lshlrev_b64 v[16:17], 4, v[127:128]
	v_add_nc_u32_e32 v127, 0x100, v125
	v_lshlrev_b64 v[10:11], 4, v[0:1]
	ds_read_b128 v[0:3], v26
	ds_read_b128 v[4:7], v26 offset:2048
	v_lshlrev_b64 v[20:21], 4, v[127:128]
	v_add_nc_u32_e32 v127, 0x180, v125
	v_add_co_u32 v10, vcc_lo, s10, v10
	v_add_co_ci_u32_e32 v11, vcc_lo, s11, v11, vcc_lo
	v_add_co_u32 v30, vcc_lo, v10, v8
	v_add_co_ci_u32_e32 v31, vcc_lo, v11, v9, vcc_lo
	;; [unrolled: 2-line block ×3, first 2 shown]
	ds_read_b128 v[8:11], v26 offset:4096
	ds_read_b128 v[12:15], v26 offset:6144
	s_waitcnt lgkmcnt(3)
	global_store_dwordx4 v[18:19], v[0:3], off
	v_add_co_u32 v0, vcc_lo, v30, v16
	v_lshlrev_b64 v[2:3], 4, v[127:128]
	v_add_co_ci_u32_e32 v1, vcc_lo, v31, v17, vcc_lo
	v_add_co_u32 v16, vcc_lo, v30, v20
	v_add_co_ci_u32_e32 v17, vcc_lo, v31, v21, vcc_lo
	v_add_nc_u32_e32 v127, 0x200, v125
	v_add_co_u32 v2, vcc_lo, v30, v2
	v_add_co_ci_u32_e32 v3, vcc_lo, v31, v3, vcc_lo
	v_lshlrev_b64 v[18:19], 4, v[127:128]
	v_add_nc_u32_e32 v127, 0x280, v125
	s_waitcnt lgkmcnt(2)
	global_store_dwordx4 v[0:1], v[4:7], off
	s_waitcnt lgkmcnt(1)
	global_store_dwordx4 v[16:17], v[8:11], off
	;; [unrolled: 2-line block ×3, first 2 shown]
	ds_read_b128 v[0:3], v26 offset:8192
	ds_read_b128 v[4:7], v26 offset:10240
	;; [unrolled: 1-line block ×3, first 2 shown]
	v_lshlrev_b64 v[12:13], 4, v[127:128]
	v_add_nc_u32_e32 v127, 0x300, v125
	v_add_co_u32 v14, vcc_lo, v30, v18
	v_add_co_ci_u32_e32 v15, vcc_lo, v31, v19, vcc_lo
	v_lshlrev_b64 v[16:17], 4, v[127:128]
	v_add_co_u32 v12, vcc_lo, v30, v12
	v_add_co_ci_u32_e32 v13, vcc_lo, v31, v13, vcc_lo
	v_add_nc_u32_e32 v127, 0x380, v125
	v_add_co_u32 v16, vcc_lo, v30, v16
	v_add_co_ci_u32_e32 v17, vcc_lo, v31, v17, vcc_lo
	v_lshlrev_b64 v[18:19], 4, v[127:128]
	v_add_nc_u32_e32 v127, 0x400, v125
	s_waitcnt lgkmcnt(2)
	global_store_dwordx4 v[14:15], v[0:3], off
	s_waitcnt lgkmcnt(1)
	global_store_dwordx4 v[12:13], v[4:7], off
	;; [unrolled: 2-line block ×3, first 2 shown]
	ds_read_b128 v[0:3], v26 offset:14336
	ds_read_b128 v[4:7], v26 offset:16384
	;; [unrolled: 1-line block ×3, first 2 shown]
	v_lshlrev_b64 v[12:13], 4, v[127:128]
	v_add_nc_u32_e32 v127, 0x480, v125
	v_add_co_u32 v14, vcc_lo, v30, v18
	v_add_co_ci_u32_e32 v15, vcc_lo, v31, v19, vcc_lo
	v_lshlrev_b64 v[16:17], 4, v[127:128]
	v_add_co_u32 v12, vcc_lo, v30, v12
	v_add_co_ci_u32_e32 v13, vcc_lo, v31, v13, vcc_lo
	v_add_nc_u32_e32 v127, 0x500, v125
	v_add_co_u32 v16, vcc_lo, v30, v16
	v_add_co_ci_u32_e32 v17, vcc_lo, v31, v17, vcc_lo
	s_waitcnt lgkmcnt(2)
	global_store_dwordx4 v[14:15], v[0:3], off
	v_lshlrev_b64 v[14:15], 4, v[127:128]
	v_add_nc_u32_e32 v127, 0x580, v125
	s_waitcnt lgkmcnt(1)
	global_store_dwordx4 v[12:13], v[4:7], off
	s_waitcnt lgkmcnt(0)
	global_store_dwordx4 v[16:17], v[8:11], off
	ds_read_b128 v[0:3], v26 offset:20480
	ds_read_b128 v[4:7], v26 offset:22528
	;; [unrolled: 1-line block ×3, first 2 shown]
	v_lshlrev_b64 v[12:13], 4, v[127:128]
	v_add_nc_u32_e32 v127, 0x600, v125
	v_add_co_u32 v14, vcc_lo, v30, v14
	v_add_co_ci_u32_e32 v15, vcc_lo, v31, v15, vcc_lo
	v_lshlrev_b64 v[16:17], 4, v[127:128]
	v_add_co_u32 v12, vcc_lo, v30, v12
	v_add_co_ci_u32_e32 v13, vcc_lo, v31, v13, vcc_lo
	v_add_nc_u32_e32 v127, 0x680, v125
	v_add_co_u32 v16, vcc_lo, v30, v16
	v_add_co_ci_u32_e32 v17, vcc_lo, v31, v17, vcc_lo
	s_waitcnt lgkmcnt(2)
	global_store_dwordx4 v[14:15], v[0:3], off
	s_waitcnt lgkmcnt(1)
	global_store_dwordx4 v[12:13], v[4:7], off
	v_lshlrev_b64 v[18:19], 4, v[127:128]
	v_add_nc_u32_e32 v127, 0x700, v125
	ds_read_b128 v[0:3], v26 offset:26624
	s_waitcnt lgkmcnt(1)
	global_store_dwordx4 v[16:17], v[8:11], off
	ds_read_b128 v[4:7], v26 offset:28672
	ds_read_b128 v[8:11], v26 offset:30720
	v_lshlrev_b64 v[12:13], 4, v[127:128]
	v_add_nc_u32_e32 v127, 0x780, v125
	v_add_co_u32 v14, vcc_lo, v30, v18
	v_add_co_ci_u32_e32 v15, vcc_lo, v31, v19, vcc_lo
	v_lshlrev_b64 v[16:17], 4, v[127:128]
	v_add_co_u32 v12, vcc_lo, v30, v12
	v_add_co_ci_u32_e32 v13, vcc_lo, v31, v13, vcc_lo
	v_add_nc_u32_e32 v127, 0x800, v125
	v_add_co_u32 v16, vcc_lo, v30, v16
	v_add_co_ci_u32_e32 v17, vcc_lo, v31, v17, vcc_lo
	s_waitcnt lgkmcnt(2)
	global_store_dwordx4 v[14:15], v[0:3], off
	v_lshlrev_b64 v[14:15], 4, v[127:128]
	v_add_nc_u32_e32 v127, 0x880, v125
	s_waitcnt lgkmcnt(1)
	global_store_dwordx4 v[12:13], v[4:7], off
	s_waitcnt lgkmcnt(0)
	global_store_dwordx4 v[16:17], v[8:11], off
	ds_read_b128 v[0:3], v26 offset:32768
	ds_read_b128 v[4:7], v26 offset:34816
	;; [unrolled: 1-line block ×3, first 2 shown]
	v_lshlrev_b64 v[12:13], 4, v[127:128]
	v_add_nc_u32_e32 v127, 0x900, v125
	v_add_co_u32 v14, vcc_lo, v30, v14
	v_add_co_ci_u32_e32 v15, vcc_lo, v31, v15, vcc_lo
	v_lshlrev_b64 v[16:17], 4, v[127:128]
	v_add_co_u32 v12, vcc_lo, v30, v12
	v_add_co_ci_u32_e32 v13, vcc_lo, v31, v13, vcc_lo
	v_add_nc_u32_e32 v127, 0x980, v125
	v_add_co_u32 v16, vcc_lo, v30, v16
	v_add_co_ci_u32_e32 v17, vcc_lo, v31, v17, vcc_lo
	v_lshlrev_b64 v[18:19], 4, v[127:128]
	v_add_nc_u32_e32 v127, 0xa00, v125
	s_waitcnt lgkmcnt(2)
	global_store_dwordx4 v[14:15], v[0:3], off
	s_waitcnt lgkmcnt(1)
	global_store_dwordx4 v[12:13], v[4:7], off
	;; [unrolled: 2-line block ×3, first 2 shown]
	ds_read_b128 v[0:3], v26 offset:38912
	ds_read_b128 v[4:7], v26 offset:40960
	;; [unrolled: 1-line block ×3, first 2 shown]
	v_lshlrev_b64 v[12:13], 4, v[127:128]
	v_add_nc_u32_e32 v127, 0xa80, v125
	v_add_co_u32 v14, vcc_lo, v30, v18
	v_add_co_ci_u32_e32 v15, vcc_lo, v31, v19, vcc_lo
	v_lshlrev_b64 v[16:17], 4, v[127:128]
	v_add_co_u32 v12, vcc_lo, v30, v12
	v_add_co_ci_u32_e32 v13, vcc_lo, v31, v13, vcc_lo
	v_add_nc_u32_e32 v127, 0xb00, v125
	v_add_co_u32 v16, vcc_lo, v30, v16
	v_add_co_ci_u32_e32 v17, vcc_lo, v31, v17, vcc_lo
	s_waitcnt lgkmcnt(2)
	global_store_dwordx4 v[14:15], v[0:3], off
	s_waitcnt lgkmcnt(1)
	global_store_dwordx4 v[12:13], v[4:7], off
	s_waitcnt lgkmcnt(0)
	global_store_dwordx4 v[16:17], v[8:11], off
	v_lshlrev_b64 v[14:15], 4, v[127:128]
	v_add_nc_u32_e32 v127, 0xb80, v125
	ds_read_b128 v[0:3], v26 offset:45056
	ds_read_b128 v[4:7], v26 offset:47104
	;; [unrolled: 1-line block ×3, first 2 shown]
	v_lshlrev_b64 v[12:13], 4, v[127:128]
	v_add_nc_u32_e32 v127, 0xc00, v125
	v_add_co_u32 v14, vcc_lo, v30, v14
	v_add_co_ci_u32_e32 v15, vcc_lo, v31, v15, vcc_lo
	v_lshlrev_b64 v[16:17], 4, v[127:128]
	v_add_nc_u32_e32 v127, 0xc80, v125
	v_add_co_u32 v12, vcc_lo, v30, v12
	v_add_co_ci_u32_e32 v13, vcc_lo, v31, v13, vcc_lo
	v_lshlrev_b64 v[18:19], 4, v[127:128]
	v_add_nc_u32_e32 v127, 0xd00, v125
	v_add_co_u32 v16, vcc_lo, v30, v16
	s_waitcnt lgkmcnt(2)
	global_store_dwordx4 v[14:15], v[0:3], off
	s_waitcnt lgkmcnt(1)
	global_store_dwordx4 v[12:13], v[4:7], off
	v_add_co_ci_u32_e32 v17, vcc_lo, v31, v17, vcc_lo
	v_lshlrev_b64 v[4:5], 4, v[127:128]
	v_add_co_u32 v20, vcc_lo, v30, v18
	v_add_nc_u32_e32 v127, 0xd80, v125
	v_add_co_ci_u32_e32 v21, vcc_lo, v31, v19, vcc_lo
	v_add_co_u32 v22, vcc_lo, v30, v4
	s_waitcnt lgkmcnt(0)
	global_store_dwordx4 v[16:17], v[8:11], off
	ds_read_b128 v[0:3], v26 offset:51200
	v_add_co_ci_u32_e32 v23, vcc_lo, v31, v5, vcc_lo
	ds_read_b128 v[4:7], v26 offset:53248
	ds_read_b128 v[8:11], v26 offset:55296
	;; [unrolled: 1-line block ×4, first 2 shown]
	v_lshlrev_b64 v[24:25], 4, v[127:128]
	v_add_nc_u32_e32 v127, 0xe00, v125
	v_lshlrev_b64 v[26:27], 4, v[127:128]
	v_add_nc_u32_e32 v127, 0xe80, v125
	v_add_co_u32 v24, vcc_lo, v30, v24
	v_add_co_ci_u32_e32 v25, vcc_lo, v31, v25, vcc_lo
	v_lshlrev_b64 v[28:29], 4, v[127:128]
	v_add_co_u32 v26, vcc_lo, v30, v26
	v_add_co_ci_u32_e32 v27, vcc_lo, v31, v27, vcc_lo
	v_add_co_u32 v28, vcc_lo, v30, v28
	v_add_co_ci_u32_e32 v29, vcc_lo, v31, v29, vcc_lo
	s_waitcnt lgkmcnt(4)
	global_store_dwordx4 v[20:21], v[0:3], off
	s_waitcnt lgkmcnt(3)
	global_store_dwordx4 v[22:23], v[4:7], off
	;; [unrolled: 2-line block ×5, first 2 shown]
.LBB0_21:
	s_endpgm
	.section	.rodata,"a",@progbits
	.p2align	6, 0x0
	.amdhsa_kernel fft_rtc_back_len3840_factors_10_6_2_2_2_2_2_2_wgs_128_tpt_128_halfLds_dp_op_CI_CI_unitstride_sbrr_C2R_dirReg
		.amdhsa_group_segment_fixed_size 0
		.amdhsa_private_segment_fixed_size 44
		.amdhsa_kernarg_size 104
		.amdhsa_user_sgpr_count 6
		.amdhsa_user_sgpr_private_segment_buffer 1
		.amdhsa_user_sgpr_dispatch_ptr 0
		.amdhsa_user_sgpr_queue_ptr 0
		.amdhsa_user_sgpr_kernarg_segment_ptr 1
		.amdhsa_user_sgpr_dispatch_id 0
		.amdhsa_user_sgpr_flat_scratch_init 0
		.amdhsa_user_sgpr_private_segment_size 0
		.amdhsa_wavefront_size32 1
		.amdhsa_uses_dynamic_stack 0
		.amdhsa_system_sgpr_private_segment_wavefront_offset 1
		.amdhsa_system_sgpr_workgroup_id_x 1
		.amdhsa_system_sgpr_workgroup_id_y 0
		.amdhsa_system_sgpr_workgroup_id_z 0
		.amdhsa_system_sgpr_workgroup_info 0
		.amdhsa_system_vgpr_workitem_id 0
		.amdhsa_next_free_vgpr 256
		.amdhsa_next_free_sgpr 32
		.amdhsa_reserve_vcc 1
		.amdhsa_reserve_flat_scratch 0
		.amdhsa_float_round_mode_32 0
		.amdhsa_float_round_mode_16_64 0
		.amdhsa_float_denorm_mode_32 3
		.amdhsa_float_denorm_mode_16_64 3
		.amdhsa_dx10_clamp 1
		.amdhsa_ieee_mode 1
		.amdhsa_fp16_overflow 0
		.amdhsa_workgroup_processor_mode 1
		.amdhsa_memory_ordered 1
		.amdhsa_forward_progress 0
		.amdhsa_shared_vgpr_count 0
		.amdhsa_exception_fp_ieee_invalid_op 0
		.amdhsa_exception_fp_denorm_src 0
		.amdhsa_exception_fp_ieee_div_zero 0
		.amdhsa_exception_fp_ieee_overflow 0
		.amdhsa_exception_fp_ieee_underflow 0
		.amdhsa_exception_fp_ieee_inexact 0
		.amdhsa_exception_int_div_zero 0
	.end_amdhsa_kernel
	.text
.Lfunc_end0:
	.size	fft_rtc_back_len3840_factors_10_6_2_2_2_2_2_2_wgs_128_tpt_128_halfLds_dp_op_CI_CI_unitstride_sbrr_C2R_dirReg, .Lfunc_end0-fft_rtc_back_len3840_factors_10_6_2_2_2_2_2_2_wgs_128_tpt_128_halfLds_dp_op_CI_CI_unitstride_sbrr_C2R_dirReg
                                        ; -- End function
	.section	.AMDGPU.csdata,"",@progbits
; Kernel info:
; codeLenInByte = 29788
; NumSgprs: 34
; NumVgprs: 256
; ScratchSize: 44
; MemoryBound: 0
; FloatMode: 240
; IeeeMode: 1
; LDSByteSize: 0 bytes/workgroup (compile time only)
; SGPRBlocks: 4
; VGPRBlocks: 31
; NumSGPRsForWavesPerEU: 34
; NumVGPRsForWavesPerEU: 256
; Occupancy: 4
; WaveLimiterHint : 1
; COMPUTE_PGM_RSRC2:SCRATCH_EN: 1
; COMPUTE_PGM_RSRC2:USER_SGPR: 6
; COMPUTE_PGM_RSRC2:TRAP_HANDLER: 0
; COMPUTE_PGM_RSRC2:TGID_X_EN: 1
; COMPUTE_PGM_RSRC2:TGID_Y_EN: 0
; COMPUTE_PGM_RSRC2:TGID_Z_EN: 0
; COMPUTE_PGM_RSRC2:TIDIG_COMP_CNT: 0
	.text
	.p2alignl 6, 3214868480
	.fill 48, 4, 3214868480
	.type	__hip_cuid_592b64d65eb7045d,@object ; @__hip_cuid_592b64d65eb7045d
	.section	.bss,"aw",@nobits
	.globl	__hip_cuid_592b64d65eb7045d
__hip_cuid_592b64d65eb7045d:
	.byte	0                               ; 0x0
	.size	__hip_cuid_592b64d65eb7045d, 1

	.ident	"AMD clang version 19.0.0git (https://github.com/RadeonOpenCompute/llvm-project roc-6.4.0 25133 c7fe45cf4b819c5991fe208aaa96edf142730f1d)"
	.section	".note.GNU-stack","",@progbits
	.addrsig
	.addrsig_sym __hip_cuid_592b64d65eb7045d
	.amdgpu_metadata
---
amdhsa.kernels:
  - .args:
      - .actual_access:  read_only
        .address_space:  global
        .offset:         0
        .size:           8
        .value_kind:     global_buffer
      - .offset:         8
        .size:           8
        .value_kind:     by_value
      - .actual_access:  read_only
        .address_space:  global
        .offset:         16
        .size:           8
        .value_kind:     global_buffer
      - .actual_access:  read_only
        .address_space:  global
        .offset:         24
        .size:           8
        .value_kind:     global_buffer
      - .actual_access:  read_only
        .address_space:  global
        .offset:         32
        .size:           8
        .value_kind:     global_buffer
      - .offset:         40
        .size:           8
        .value_kind:     by_value
      - .actual_access:  read_only
        .address_space:  global
        .offset:         48
        .size:           8
        .value_kind:     global_buffer
      - .actual_access:  read_only
        .address_space:  global
        .offset:         56
        .size:           8
        .value_kind:     global_buffer
      - .offset:         64
        .size:           4
        .value_kind:     by_value
      - .actual_access:  read_only
        .address_space:  global
        .offset:         72
        .size:           8
        .value_kind:     global_buffer
      - .actual_access:  read_only
        .address_space:  global
        .offset:         80
        .size:           8
        .value_kind:     global_buffer
      - .actual_access:  read_only
        .address_space:  global
        .offset:         88
        .size:           8
        .value_kind:     global_buffer
      - .actual_access:  write_only
        .address_space:  global
        .offset:         96
        .size:           8
        .value_kind:     global_buffer
    .group_segment_fixed_size: 0
    .kernarg_segment_align: 8
    .kernarg_segment_size: 104
    .language:       OpenCL C
    .language_version:
      - 2
      - 0
    .max_flat_workgroup_size: 128
    .name:           fft_rtc_back_len3840_factors_10_6_2_2_2_2_2_2_wgs_128_tpt_128_halfLds_dp_op_CI_CI_unitstride_sbrr_C2R_dirReg
    .private_segment_fixed_size: 44
    .sgpr_count:     34
    .sgpr_spill_count: 0
    .symbol:         fft_rtc_back_len3840_factors_10_6_2_2_2_2_2_2_wgs_128_tpt_128_halfLds_dp_op_CI_CI_unitstride_sbrr_C2R_dirReg.kd
    .uniform_work_group_size: 1
    .uses_dynamic_stack: false
    .vgpr_count:     256
    .vgpr_spill_count: 10
    .wavefront_size: 32
    .workgroup_processor_mode: 1
amdhsa.target:   amdgcn-amd-amdhsa--gfx1030
amdhsa.version:
  - 1
  - 2
...

	.end_amdgpu_metadata
